;; amdgpu-corpus repo=ROCm/rocFFT kind=compiled arch=gfx1030 opt=O3
	.text
	.amdgcn_target "amdgcn-amd-amdhsa--gfx1030"
	.amdhsa_code_object_version 6
	.protected	bluestein_single_fwd_len1156_dim1_sp_op_CI_CI ; -- Begin function bluestein_single_fwd_len1156_dim1_sp_op_CI_CI
	.globl	bluestein_single_fwd_len1156_dim1_sp_op_CI_CI
	.p2align	8
	.type	bluestein_single_fwd_len1156_dim1_sp_op_CI_CI,@function
bluestein_single_fwd_len1156_dim1_sp_op_CI_CI: ; @bluestein_single_fwd_len1156_dim1_sp_op_CI_CI
; %bb.0:
	s_load_dwordx4 s[12:15], s[4:5], 0x28
	v_mul_u32_u24_e32 v1, 0x3c4, v0
	v_lshrrev_b32_e32 v1, 16, v1
	v_mad_u64_u32 v[74:75], null, s6, 3, v[1:2]
	v_mov_b32_e32 v75, 0
                                        ; kill: def $vgpr2 killed $sgpr0 killed $exec
	s_mov_b32 s0, exec_lo
	s_waitcnt lgkmcnt(0)
	v_cmpx_gt_u64_e64 s[12:13], v[74:75]
	s_cbranch_execz .LBB0_18
; %bb.1:
	s_clause 0x1
	s_load_dwordx4 s[8:11], s[4:5], 0x18
	s_load_dwordx4 s[0:3], s[4:5], 0x0
	v_mul_lo_u16 v1, 0x44, v1
	s_load_dwordx2 s[4:5], s[4:5], 0x38
	v_sub_nc_u16 v34, v0, v1
	v_and_b32_e32 v142, 0xffff, v34
	v_lshlrev_b32_e32 v119, 3, v142
	s_waitcnt lgkmcnt(0)
	s_load_dwordx4 s[16:19], s[8:9], 0x0
	s_clause 0x3
	global_load_dwordx2 v[81:82], v119, s[0:1]
	global_load_dwordx2 v[83:84], v119, s[0:1] offset:544
	global_load_dwordx2 v[77:78], v119, s[0:1] offset:1088
	;; [unrolled: 1-line block ×3, first 2 shown]
	v_add_co_u32 v158, s6, s0, v119
	v_add_co_ci_u32_e64 v157, null, s1, 0, s6
	s_waitcnt lgkmcnt(0)
	v_mad_u64_u32 v[0:1], null, s18, v74, 0
	v_mad_u64_u32 v[2:3], null, s16, v142, 0
	s_mul_i32 s0, s17, 0x220
	s_mul_hi_u32 s1, s16, 0x220
	s_mul_i32 s6, s16, 0x220
	s_add_i32 s1, s1, s0
	v_mad_u64_u32 v[4:5], null, s19, v74, v[1:2]
	v_add_co_u32 v5, vcc_lo, 0x800, v158
	v_add_co_ci_u32_e32 v6, vcc_lo, 0, v157, vcc_lo
	s_clause 0x3
	global_load_dwordx2 v[97:98], v[5:6], off offset:128
	global_load_dwordx2 v[95:96], v[5:6], off offset:672
	;; [unrolled: 1-line block ×4, first 2 shown]
	v_mad_u64_u32 v[7:8], null, s17, v142, v[3:4]
	v_mov_b32_e32 v1, v4
	v_add_co_u32 v8, vcc_lo, 0x1000, v158
	v_add_co_ci_u32_e32 v9, vcc_lo, 0, v157, vcc_lo
	v_add_co_u32 v10, vcc_lo, 0x1800, v158
	v_mov_b32_e32 v3, v7
	v_lshlrev_b64 v[0:1], 3, v[0:1]
	v_add_co_ci_u32_e32 v11, vcc_lo, 0, v157, vcc_lo
	v_add_co_u32 v135, vcc_lo, 0x2000, v158
	v_add_co_ci_u32_e32 v136, vcc_lo, 0, v157, vcc_lo
	v_lshlrev_b64 v[2:3], 3, v[2:3]
	v_add_co_u32 v0, vcc_lo, s14, v0
	v_add_co_ci_u32_e32 v1, vcc_lo, s15, v1, vcc_lo
	s_clause 0x3
	global_load_dwordx2 v[91:92], v[8:9], off offset:256
	global_load_dwordx2 v[87:88], v[8:9], off offset:800
	global_load_dwordx2 v[85:86], v[8:9], off offset:1344
	global_load_dwordx2 v[75:76], v[8:9], off offset:1888
	v_add_co_u32 v0, vcc_lo, v0, v2
	v_add_co_ci_u32_e32 v1, vcc_lo, v1, v3, vcc_lo
	s_clause 0x2
	global_load_dwordx2 v[68:69], v[10:11], off offset:384
	global_load_dwordx2 v[66:67], v[10:11], off offset:928
	;; [unrolled: 1-line block ×3, first 2 shown]
	v_add_co_u32 v2, vcc_lo, v0, s6
	v_add_co_ci_u32_e32 v3, vcc_lo, s1, v1, vcc_lo
	v_add_co_u32 v4, vcc_lo, v2, s6
	v_add_co_ci_u32_e32 v5, vcc_lo, s1, v3, vcc_lo
	;; [unrolled: 2-line block ×4, first 2 shown]
	s_clause 0x3
	global_load_dwordx2 v[0:1], v[0:1], off
	global_load_dwordx2 v[2:3], v[2:3], off
	;; [unrolled: 1-line block ×4, first 2 shown]
	v_add_co_u32 v12, vcc_lo, v8, s6
	v_add_co_ci_u32_e32 v13, vcc_lo, s1, v9, vcc_lo
	global_load_dwordx2 v[8:9], v[8:9], off
	v_add_co_u32 v14, vcc_lo, v12, s6
	v_add_co_ci_u32_e32 v15, vcc_lo, s1, v13, vcc_lo
	global_load_dwordx2 v[12:13], v[12:13], off
	;; [unrolled: 3-line block ×11, first 2 shown]
	v_add_co_u32 v26, vcc_lo, v28, s6
	v_add_co_ci_u32_e32 v27, vcc_lo, s1, v29, vcc_lo
	global_load_dwordx2 v[70:71], v[10:11], off offset:2016
	global_load_dwordx2 v[10:11], v[28:29], off
	global_load_dwordx2 v[72:73], v[135:136], off offset:512
	global_load_dwordx2 v[37:38], v[26:27], off
	v_mul_hi_u32 v26, 0xaaaaaaab, v74
	s_load_dwordx4 s[8:11], s[10:11], 0x0
	v_cmp_gt_u16_e32 vcc_lo, 34, v34
	v_lshrrev_b32_e32 v26, 1, v26
	v_lshl_add_u32 v26, v26, 1, v26
	v_sub_nc_u32_e32 v26, v74, v26
	v_mul_u32_u24_e32 v26, 0x484, v26
	v_lshlrev_b32_e32 v143, 3, v26
	v_add_nc_u32_e32 v141, v119, v143
	v_add_nc_u32_e32 v26, 0x800, v141
	;; [unrolled: 1-line block ×4, first 2 shown]
	s_waitcnt vmcnt(18)
	v_mul_f32_e32 v39, v1, v82
	v_mul_f32_e32 v29, v0, v82
	s_waitcnt vmcnt(17)
	v_mul_f32_e32 v41, v3, v84
	s_waitcnt vmcnt(15)
	v_mul_f32_e32 v43, v6, v80
	v_fmac_f32_e32 v39, v0, v81
	v_fma_f32 v40, v1, v81, -v29
	v_mul_f32_e32 v1, v2, v84
	v_fmac_f32_e32 v41, v2, v83
	v_mul_f32_e32 v0, v5, v78
	v_mul_f32_e32 v29, v4, v78
	;; [unrolled: 1-line block ×3, first 2 shown]
	v_fma_f32 v42, v3, v83, -v1
	v_fma_f32 v3, v7, v79, -v43
	v_fmac_f32_e32 v0, v4, v77
	v_fma_f32 v1, v5, v77, -v29
	v_fmac_f32_e32 v2, v6, v79
	s_waitcnt vmcnt(14)
	v_mul_f32_e32 v4, v9, v98
	v_mul_f32_e32 v5, v8, v98
	ds_write2_b64 v141, v[39:40], v[41:42] offset1:68
	s_waitcnt vmcnt(13)
	v_mul_f32_e32 v6, v13, v96
	ds_write2_b64 v141, v[0:1], v[2:3] offset0:136 offset1:204
	v_fmac_f32_e32 v4, v8, v97
	v_mul_f32_e32 v1, v12, v96
	s_waitcnt vmcnt(12)
	v_mul_f32_e32 v0, v15, v94
	v_mul_f32_e32 v3, v14, v94
	s_waitcnt vmcnt(11)
	v_mul_f32_e32 v2, v17, v90
	v_mul_f32_e32 v8, v16, v90
	v_fma_f32 v5, v9, v97, -v5
	v_fmac_f32_e32 v6, v12, v95
	v_fma_f32 v7, v13, v95, -v1
	v_fmac_f32_e32 v0, v14, v93
	;; [unrolled: 2-line block ×3, first 2 shown]
	v_fma_f32 v3, v17, v89, -v8
	ds_write2_b64 v26, v[4:5], v[6:7] offset0:16 offset1:84
	s_waitcnt vmcnt(10)
	v_mul_f32_e32 v8, v19, v92
	v_mul_f32_e32 v9, v18, v92
	s_waitcnt vmcnt(9)
	v_mul_f32_e32 v4, v21, v88
	ds_write2_b64 v26, v[0:1], v[2:3] offset0:152 offset1:220
	v_mul_f32_e32 v1, v20, v88
	s_waitcnt vmcnt(8)
	v_mul_f32_e32 v3, v22, v86
	v_mul_f32_e32 v0, v23, v86
	s_waitcnt vmcnt(7)
	v_mul_f32_e32 v7, v24, v76
	v_mul_f32_e32 v2, v25, v76
	v_fma_f32 v5, v21, v87, -v1
	v_fma_f32 v1, v23, v85, -v3
	v_fmac_f32_e32 v8, v18, v91
	s_waitcnt vmcnt(6)
	v_mul_f32_e32 v6, v31, v69
	v_fma_f32 v3, v25, v75, -v7
	v_mul_f32_e32 v7, v30, v69
	v_fma_f32 v9, v19, v91, -v9
	v_fmac_f32_e32 v4, v20, v87
	s_waitcnt vmcnt(5)
	v_mul_f32_e32 v12, v33, v67
	v_mul_f32_e32 v13, v32, v67
	v_fmac_f32_e32 v0, v22, v85
	v_fmac_f32_e32 v2, v24, v75
	;; [unrolled: 1-line block ×3, first 2 shown]
	s_waitcnt vmcnt(4)
	v_mul_f32_e32 v14, v36, v65
	v_mul_f32_e32 v15, v35, v65
	v_fma_f32 v7, v31, v68, -v7
	s_waitcnt vmcnt(2)
	v_mul_f32_e32 v16, v11, v71
	v_mul_f32_e32 v17, v10, v71
	s_waitcnt vmcnt(0)
	v_mul_f32_e32 v18, v38, v73
	v_mul_f32_e32 v19, v37, v73
	v_fmac_f32_e32 v12, v32, v66
	v_fma_f32 v13, v33, v66, -v13
	v_fmac_f32_e32 v14, v35, v64
	v_fma_f32 v15, v36, v64, -v15
	;; [unrolled: 2-line block ×4, first 2 shown]
	ds_write2_b64 v28, v[8:9], v[4:5] offset0:32 offset1:100
	ds_write2_b64 v28, v[0:1], v[2:3] offset0:168 offset1:236
	;; [unrolled: 1-line block ×4, first 2 shown]
	ds_write_b64 v141, v[18:19] offset:8704
	s_waitcnt lgkmcnt(0)
	s_barrier
	buffer_gl0_inv
	ds_read2_b64 v[8:11], v141 offset1:68
	ds_read_b64 v[24:25], v141 offset:8704
	ds_read2_b64 v[20:23], v141 offset0:136 offset1:204
	ds_read2_b64 v[4:7], v27 offset0:184 offset1:252
	;; [unrolled: 1-line block ×7, first 2 shown]
	s_waitcnt lgkmcnt(0)
	s_barrier
	buffer_gl0_inv
	v_add_f32_e32 v33, v8, v10
	v_add_f32_e32 v39, v9, v11
	;; [unrolled: 1-line block ×3, first 2 shown]
	v_sub_f32_e32 v11, v11, v25
	v_add_f32_e32 v40, v24, v10
	v_sub_f32_e32 v10, v10, v24
	v_add_f32_e32 v42, v6, v20
	v_add_f32_e32 v43, v7, v21
	v_sub_f32_e32 v44, v20, v6
	v_sub_f32_e32 v45, v21, v7
	v_add_f32_e32 v20, v33, v20
	v_add_f32_e32 v21, v39, v21
	v_mul_f32_e32 v33, 0xbeb8f4ab, v11
	v_mul_f32_e32 v54, 0xbf2c7751, v11
	;; [unrolled: 1-line block ×8, first 2 shown]
	v_add_f32_e32 v46, v4, v22
	v_sub_f32_e32 v48, v22, v4
	v_mul_f32_e32 v39, 0xbeb8f4ab, v10
	v_mul_f32_e32 v55, 0xbf2c7751, v10
	;; [unrolled: 1-line block ×8, first 2 shown]
	v_add_f32_e32 v20, v20, v22
	v_add_f32_e32 v21, v21, v23
	v_fma_f32 v22, 0x3f6eb680, v40, -v33
	v_fmac_f32_e32 v33, 0x3f6eb680, v40
	v_fma_f32 v146, 0x3f3d2fb0, v40, -v54
	v_fmac_f32_e32 v54, 0x3f3d2fb0, v40
	;; [unrolled: 2-line block ×8, first 2 shown]
	v_add_f32_e32 v47, v5, v23
	v_sub_f32_e32 v49, v23, v5
	v_fmamk_f32 v23, v41, 0x3f6eb680, v39
	v_fma_f32 v39, 0x3f6eb680, v41, -v39
	v_fmamk_f32 v147, v41, 0x3f3d2fb0, v55
	v_fma_f32 v55, 0x3f3d2fb0, v41, -v55
	;; [unrolled: 2-line block ×8, first 2 shown]
	v_add_f32_e32 v22, v8, v22
	v_add_f32_e32 v33, v8, v33
	;; [unrolled: 1-line block ×35, first 2 shown]
	v_mul_f32_e32 v101, 0xbf2c7751, v45
	v_mul_f32_e32 v102, 0xbf2c7751, v44
	v_mul_f32_e32 v103, 0xbf7ee86f, v45
	v_add_f32_e32 v10, v10, v31
	v_add_f32_e32 v11, v11, v13
	v_mul_f32_e32 v104, 0xbf7ee86f, v44
	v_mul_f32_e32 v105, 0xbf4c4adb, v45
	v_mul_f32_e32 v106, 0xbf4c4adb, v44
	v_add_f32_e32 v10, v10, v12
	v_add_f32_e32 v11, v11, v15
	;; [unrolled: 5-line block ×3, first 2 shown]
	v_sub_f32_e32 v51, v30, v38
	v_mul_f32_e32 v110, 0x3f06c442, v44
	v_mul_f32_e32 v111, 0x3f763a35, v45
	v_add_f32_e32 v10, v10, v0
	v_add_f32_e32 v11, v11, v3
	v_mul_f32_e32 v112, 0x3f763a35, v44
	v_mul_f32_e32 v113, 0x3f65296c, v45
	v_mul_f32_e32 v114, 0x3f65296c, v44
	v_add_f32_e32 v10, v10, v2
	v_add_f32_e32 v11, v11, v17
	v_mul_f32_e32 v45, 0x3eb8f4ab, v45
	;; [unrolled: 5-line block ×5, first 2 shown]
	v_mul_f32_e32 v49, 0xbf06c442, v49
	v_mul_f32_e32 v126, 0x3f763a35, v48
	v_fma_f32 v40, 0x3f3d2fb0, v42, -v101
	v_fmamk_f32 v41, v43, 0x3f3d2fb0, v102
	v_fmac_f32_e32 v101, 0x3f3d2fb0, v42
	v_fma_f32 v102, 0x3f3d2fb0, v43, -v102
	v_fma_f32 v162, 0x3dbcf732, v42, -v103
	v_fmamk_f32 v163, v43, 0x3dbcf732, v104
	v_fmac_f32_e32 v103, 0x3dbcf732, v42
	v_fma_f32 v104, 0x3dbcf732, v43, -v104
	;; [unrolled: 4-line block ×4, first 2 shown]
	v_fmac_f32_e32 v109, 0xbf59a7d5, v42
	v_add_f32_e32 v10, v10, v37
	v_add_f32_e32 v5, v11, v5
	;; [unrolled: 1-line block ×3, first 2 shown]
	v_sub_f32_e32 v52, v29, v37
	v_mul_f32_e32 v128, 0xbeb8f4ab, v48
	v_mul_f32_e32 v138, 0x3eb8f4ab, v51
	v_mul_f32_e32 v140, 0xbf65296c, v51
	v_fma_f32 v108, 0xbf7ba420, v43, -v108
	v_fmamk_f32 v169, v43, 0xbf59a7d5, v110
	v_fma_f32 v110, 0xbf59a7d5, v43, -v110
	v_fma_f32 v170, 0xbe8c1d8e, v42, -v111
	v_fmamk_f32 v171, v43, 0xbe8c1d8e, v112
	v_fmac_f32_e32 v111, 0xbe8c1d8e, v42
	v_fma_f32 v112, 0xbe8c1d8e, v43, -v112
	v_fma_f32 v172, 0x3ee437d1, v42, -v113
	v_fmamk_f32 v173, v43, 0x3ee437d1, v114
	v_fmac_f32_e32 v113, 0x3ee437d1, v42
	;; [unrolled: 4-line block ×3, first 2 shown]
	v_fma_f32 v42, 0x3f6eb680, v43, -v44
	v_fma_f32 v43, 0x3ee437d1, v46, -v115
	v_fmac_f32_e32 v115, 0x3ee437d1, v46
	v_fma_f32 v44, 0xbf1a4643, v46, -v117
	v_fmac_f32_e32 v117, 0xbf1a4643, v46
	;; [unrolled: 2-line block ×8, first 2 shown]
	v_fmamk_f32 v46, v47, 0x3ee437d1, v116
	v_fmamk_f32 v184, v47, 0xbe8c1d8e, v126
	v_add_f32_e32 v20, v40, v22
	v_add_f32_e32 v21, v41, v23
	;; [unrolled: 1-line block ×16, first 2 shown]
	v_mul_f32_e32 v124, 0xbf4c4adb, v48
	v_mul_f32_e32 v125, 0x3e3c28d5, v48
	;; [unrolled: 1-line block ×7, first 2 shown]
	v_fma_f32 v126, 0xbe8c1d8e, v47, -v126
	v_fmamk_f32 v186, v47, 0x3f6eb680, v128
	v_fma_f32 v194, 0x3f6eb680, v50, -v138
	v_fmac_f32_e32 v138, 0x3f6eb680, v50
	v_fma_f32 v196, 0x3ee437d1, v50, -v140
	v_fmac_f32_e32 v140, 0x3ee437d1, v50
	v_add_f32_e32 v59, v108, v59
	v_add_f32_e32 v103, v170, v154
	;; [unrolled: 1-line block ×12, first 2 shown]
	v_mul_f32_e32 v25, 0xbf06c442, v52
	v_mul_f32_e32 v137, 0x3f763a35, v52
	;; [unrolled: 1-line block ×3, first 2 shown]
	v_fma_f32 v116, 0x3ee437d1, v47, -v116
	v_fmamk_f32 v182, v47, 0xbf1a4643, v124
	v_fma_f32 v124, 0xbf1a4643, v47, -v124
	v_fmamk_f32 v183, v47, 0xbf7ba420, v125
	;; [unrolled: 2-line block ×3, first 2 shown]
	v_fma_f32 v127, 0x3f3d2fb0, v47, -v127
	v_fma_f32 v128, 0x3f6eb680, v47, -v128
	v_fmamk_f32 v187, v47, 0x3dbcf732, v129
	v_fma_f32 v129, 0x3dbcf732, v47, -v129
	v_fmamk_f32 v188, v47, 0xbf59a7d5, v48
	v_fma_f32 v47, 0xbf59a7d5, v47, -v48
	v_fma_f32 v48, 0x3dbcf732, v50, -v130
	v_add_f32_e32 v102, v169, v153
	v_add_f32_e32 v9, v42, v9
	;; [unrolled: 1-line block ×10, first 2 shown]
	v_fma_f32 v24, 0xbf59a7d5, v50, -v145
	v_add_f32_e32 v44, v140, v57
	v_fmamk_f32 v46, v53, 0xbf59a7d5, v25
	v_sub_f32_e32 v57, v32, v36
	v_mul_f32_e32 v131, 0xbf7ee86f, v52
	v_mul_f32_e32 v132, 0xbe3c28d5, v51
	;; [unrolled: 1-line block ×5, first 2 shown]
	v_fmamk_f32 v193, v53, 0xbe8c1d8e, v137
	v_fma_f32 v137, 0xbe8c1d8e, v53, -v137
	v_fmamk_f32 v197, v53, 0x3ee437d1, v144
	v_add_f32_e32 v43, v125, v55
	v_add_f32_e32 v56, v185, v102
	;; [unrolled: 1-line block ×5, first 2 shown]
	v_mul_f32_e32 v47, 0x3f4c4adb, v51
	v_mul_f32_e32 v48, 0x3f4c4adb, v52
	v_add_f32_e32 v46, v46, v60
	v_mul_f32_e32 v51, 0x3f2c7751, v51
	v_mul_f32_e32 v52, 0x3f2c7751, v52
	v_add_f32_e32 v59, v35, v31
	v_mul_f32_e32 v60, 0xbf763a35, v57
	v_sub_f32_e32 v31, v31, v35
	v_fmamk_f32 v189, v53, 0x3dbcf732, v131
	v_fmac_f32_e32 v130, 0x3dbcf732, v50
	v_fma_f32 v131, 0x3dbcf732, v53, -v131
	v_fma_f32 v190, 0xbf7ba420, v50, -v132
	v_fmac_f32_e32 v132, 0xbf7ba420, v50
	v_fma_f32 v192, 0xbe8c1d8e, v50, -v134
	v_fmac_f32_e32 v134, 0xbe8c1d8e, v50
	v_add_f32_e32 v30, v163, v147
	v_add_f32_e32 v40, v164, v148
	;; [unrolled: 1-line block ×9, first 2 shown]
	v_fmac_f32_e32 v145, 0xbf59a7d5, v50
	v_fma_f32 v49, 0xbf1a4643, v50, -v47
	v_fmac_f32_e32 v47, 0xbf1a4643, v50
	v_fma_f32 v56, 0x3f3d2fb0, v50, -v51
	;; [unrolled: 2-line block ×3, first 2 shown]
	v_add_f32_e32 v32, v36, v32
	v_fma_f32 v36, 0xbe8c1d8e, v59, -v60
	v_mul_f32_e32 v50, 0xbf763a35, v31
	v_fmamk_f32 v191, v53, 0xbf7ba420, v133
	v_fmamk_f32 v195, v53, 0x3f6eb680, v139
	v_fma_f32 v144, 0x3ee437d1, v53, -v144
	v_add_f32_e32 v30, v182, v30
	v_add_f32_e32 v33, v117, v33
	;; [unrolled: 1-line block ×11, first 2 shown]
	v_fmamk_f32 v35, v32, 0xbe8c1d8e, v50
	v_mul_f32_e32 v36, 0x3f06c442, v57
	v_fma_f32 v50, 0xbe8c1d8e, v32, -v50
	v_mul_f32_e32 v51, 0x3f06c442, v31
	v_fma_f32 v133, 0xbf7ba420, v53, -v133
	v_fma_f32 v139, 0x3f6eb680, v53, -v139
	v_add_f32_e32 v108, v175, v161
	v_add_f32_e32 v39, v124, v39
	;; [unrolled: 1-line block ×11, first 2 shown]
	v_fma_f32 v25, 0xbf59a7d5, v53, -v25
	v_fmamk_f32 v55, v53, 0xbf1a4643, v48
	v_fma_f32 v48, 0xbf1a4643, v53, -v48
	v_fmamk_f32 v58, v53, 0x3f3d2fb0, v52
	v_add_f32_e32 v21, v35, v21
	v_fma_f32 v35, 0xbf59a7d5, v59, -v36
	v_add_f32_e32 v23, v50, v23
	v_fmamk_f32 v50, v32, 0xbf59a7d5, v51
	v_mul_f32_e32 v53, 0x3f2c7751, v57
	v_fmac_f32_e32 v36, 0xbf59a7d5, v59
	v_add_f32_e32 v103, v188, v108
	v_add_f32_e32 v39, v133, v39
	;; [unrolled: 1-line block ×3, first 2 shown]
	v_fma_f32 v35, 0xbf59a7d5, v32, -v51
	v_add_f32_e32 v30, v50, v30
	v_fma_f32 v50, 0x3f3d2fb0, v59, -v53
	v_mul_f32_e32 v51, 0x3f2c7751, v31
	v_add_f32_e32 v33, v36, v33
	v_mul_f32_e32 v36, 0xbf65296c, v57
	v_add_f32_e32 v52, v58, v103
	v_add_f32_e32 v35, v35, v39
	;; [unrolled: 1-line block ×3, first 2 shown]
	v_fmamk_f32 v39, v32, 0x3f3d2fb0, v51
	v_fmac_f32_e32 v53, 0x3f3d2fb0, v59
	v_fma_f32 v50, 0x3f3d2fb0, v32, -v51
	v_fma_f32 v51, 0x3ee437d1, v59, -v36
	v_mul_f32_e32 v58, 0xbf65296c, v31
	v_add_f32_e32 v7, v139, v54
	v_add_f32_e32 v38, v39, v38
	;; [unrolled: 1-line block ×5, first 2 shown]
	v_fmamk_f32 v40, v32, 0x3ee437d1, v58
	v_mul_f32_e32 v50, 0xbe3c28d5, v57
	v_fmac_f32_e32 v36, 0x3ee437d1, v59
	v_fma_f32 v51, 0x3ee437d1, v32, -v58
	v_mul_f32_e32 v53, 0xbe3c28d5, v31
	v_add_f32_e32 v62, v111, v62
	v_add_f32_e32 v40, v40, v41
	v_fma_f32 v41, 0xbf7ba420, v59, -v50
	v_add_f32_e32 v6, v36, v6
	v_add_f32_e32 v7, v51, v7
	v_fmamk_f32 v36, v32, 0xbf7ba420, v53
	v_mul_f32_e32 v51, 0x3f7ee86f, v57
	v_add_f32_e32 v63, v112, v63
	v_add_f32_e32 v105, v172, v156
	;; [unrolled: 1-line block ×4, first 2 shown]
	v_fma_f32 v42, 0xbf7ba420, v32, -v53
	v_add_f32_e32 v36, v36, v43
	v_fma_f32 v43, 0x3dbcf732, v59, -v51
	v_mul_f32_e32 v53, 0x3f7ee86f, v31
	v_add_f32_e32 v99, v113, v99
	v_add_f32_e32 v100, v114, v100
	;; [unrolled: 1-line block ×6, first 2 shown]
	v_fmac_f32_e32 v50, 0xbf7ba420, v59
	v_add_f32_e32 v42, v42, v45
	v_mul_f32_e32 v45, 0xbeb8f4ab, v57
	v_add_f32_e32 v24, v43, v24
	v_fmamk_f32 v43, v32, 0x3dbcf732, v53
	v_fmac_f32_e32 v51, 0x3dbcf732, v59
	v_add_f32_e32 v106, v173, v159
	v_add_f32_e32 v99, v123, v99
	;; [unrolled: 1-line block ×6, first 2 shown]
	v_fma_f32 v50, 0x3dbcf732, v32, -v53
	v_fma_f32 v53, 0x3f6eb680, v59, -v45
	v_mul_f32_e32 v58, 0xbeb8f4ab, v31
	v_add_f32_e32 v43, v43, v46
	v_add_f32_e32 v46, v51, v54
	v_mul_f32_e32 v51, 0xbf4c4adb, v57
	v_add_f32_e32 v101, v187, v106
	v_add_f32_e32 v25, v25, v62
	;; [unrolled: 1-line block ×6, first 2 shown]
	v_fmac_f32_e32 v45, 0x3f6eb680, v59
	v_fma_f32 v53, 0x3f6eb680, v32, -v58
	v_fma_f32 v54, 0xbf1a4643, v59, -v51
	v_add_f32_e32 v55, v55, v101
	v_add_f32_e32 v25, v50, v25
	v_fmamk_f32 v50, v32, 0x3f6eb680, v58
	v_mul_f32_e32 v31, 0xbf4c4adb, v31
	v_add_f32_e32 v45, v45, v47
	v_add_f32_e32 v47, v53, v48
	v_sub_f32_e32 v48, v13, v19
	v_add_f32_e32 v53, v54, v56
	v_add_f32_e32 v54, v18, v12
	v_sub_f32_e32 v12, v12, v18
	v_add_f32_e32 v22, v115, v22
	v_add_f32_e32 v50, v50, v55
	v_fmamk_f32 v55, v32, 0xbf1a4643, v31
	v_mul_f32_e32 v18, 0xbf4c4adb, v48
	v_fmac_f32_e32 v51, 0xbf1a4643, v59
	v_fma_f32 v31, 0xbf1a4643, v32, -v31
	v_add_f32_e32 v13, v19, v13
	v_mul_f32_e32 v19, 0xbf4c4adb, v12
	v_add_f32_e32 v22, v130, v22
	v_fmac_f32_e32 v60, 0xbe8c1d8e, v59
	v_fma_f32 v32, 0xbf1a4643, v54, -v18
	v_add_f32_e32 v8, v51, v8
	v_add_f32_e32 v9, v31, v9
	v_mul_f32_e32 v31, 0x3f763a35, v48
	v_fmamk_f32 v51, v13, 0xbf1a4643, v19
	v_add_f32_e32 v22, v60, v22
	v_add_f32_e32 v20, v32, v20
	v_fmac_f32_e32 v18, 0xbf1a4643, v54
	v_fma_f32 v19, 0xbf1a4643, v13, -v19
	v_fma_f32 v32, 0xbe8c1d8e, v54, -v31
	v_add_f32_e32 v21, v51, v21
	v_mul_f32_e32 v51, 0x3f763a35, v12
	v_add_f32_e32 v18, v18, v22
	v_add_f32_e32 v19, v19, v23
	;; [unrolled: 1-line block ×3, first 2 shown]
	v_mul_f32_e32 v23, 0xbeb8f4ab, v48
	v_fmamk_f32 v29, v13, 0xbe8c1d8e, v51
	v_fmac_f32_e32 v31, 0xbe8c1d8e, v54
	v_fma_f32 v32, 0xbe8c1d8e, v13, -v51
	v_mul_f32_e32 v51, 0xbeb8f4ab, v12
	v_add_f32_e32 v52, v55, v52
	v_fma_f32 v55, 0x3f6eb680, v54, -v23
	v_add_f32_e32 v29, v29, v30
	v_add_f32_e32 v30, v31, v33
	;; [unrolled: 1-line block ×3, first 2 shown]
	v_fmamk_f32 v32, v13, 0x3f6eb680, v51
	v_add_f32_e32 v33, v55, v37
	v_mul_f32_e32 v35, 0xbf06c442, v48
	v_fmac_f32_e32 v23, 0x3f6eb680, v54
	v_fma_f32 v37, 0x3f6eb680, v13, -v51
	v_add_f32_e32 v32, v32, v38
	v_mul_f32_e32 v38, 0xbf06c442, v12
	v_fma_f32 v51, 0xbf59a7d5, v54, -v35
	v_add_f32_e32 v23, v23, v39
	v_add_f32_e32 v10, v37, v10
	v_mul_f32_e32 v37, 0x3f7ee86f, v48
	v_fmamk_f32 v39, v13, 0xbf59a7d5, v38
	v_add_f32_e32 v11, v51, v11
	v_fmac_f32_e32 v35, 0xbf59a7d5, v54
	v_fma_f32 v38, 0xbf59a7d5, v13, -v38
	v_fma_f32 v51, 0x3dbcf732, v54, -v37
	v_add_f32_e32 v39, v39, v40
	v_mul_f32_e32 v40, 0x3f7ee86f, v12
	v_add_f32_e32 v6, v35, v6
	v_add_f32_e32 v7, v38, v7
	;; [unrolled: 1-line block ×3, first 2 shown]
	v_mul_f32_e32 v51, 0xbf2c7751, v12
	v_fmamk_f32 v41, v13, 0x3dbcf732, v40
	v_mul_f32_e32 v38, 0xbf2c7751, v48
	v_fmac_f32_e32 v37, 0x3dbcf732, v54
	v_fma_f32 v40, 0x3dbcf732, v13, -v40
	v_add_f32_e32 v36, v41, v36
	v_fmamk_f32 v41, v13, 0x3f3d2fb0, v51
	v_fma_f32 v55, 0x3f3d2fb0, v54, -v38
	v_add_f32_e32 v37, v37, v44
	v_add_f32_e32 v40, v40, v42
	v_mul_f32_e32 v42, 0xbe3c28d5, v48
	v_fmac_f32_e32 v38, 0x3f3d2fb0, v54
	v_fma_f32 v44, 0x3f3d2fb0, v13, -v51
	v_add_f32_e32 v41, v41, v43
	v_mul_f32_e32 v43, 0xbe3c28d5, v12
	v_fma_f32 v51, 0xbf7ba420, v54, -v42
	v_add_f32_e32 v38, v38, v46
	v_add_f32_e32 v25, v44, v25
	v_mul_f32_e32 v44, 0x3f65296c, v48
	v_fmamk_f32 v46, v13, 0xbf7ba420, v43
	v_fma_f32 v43, 0xbf7ba420, v13, -v43
	v_add_f32_e32 v48, v51, v49
	v_fmac_f32_e32 v42, 0xbf7ba420, v54
	v_fma_f32 v49, 0x3ee437d1, v54, -v44
	v_add_f32_e32 v46, v46, v50
	v_mul_f32_e32 v12, 0x3f65296c, v12
	v_add_f32_e32 v43, v43, v47
	v_sub_f32_e32 v47, v15, v17
	v_sub_f32_e32 v50, v14, v16
	v_add_f32_e32 v42, v42, v45
	v_add_f32_e32 v45, v49, v53
	v_fmamk_f32 v49, v13, 0x3ee437d1, v12
	v_fmac_f32_e32 v44, 0x3ee437d1, v54
	v_add_f32_e32 v14, v16, v14
	v_mul_f32_e32 v16, 0xbf06c442, v47
	v_fma_f32 v12, 0x3ee437d1, v13, -v12
	v_add_f32_e32 v13, v17, v15
	v_mul_f32_e32 v15, 0xbf06c442, v50
	v_add_f32_e32 v17, v49, v52
	v_fma_f32 v49, 0xbf59a7d5, v14, -v16
	v_add_f32_e32 v8, v44, v8
	v_add_f32_e32 v9, v12, v9
	v_fmamk_f32 v12, v13, 0xbf59a7d5, v15
	v_mul_f32_e32 v44, 0x3f65296c, v47
	v_fmac_f32_e32 v16, 0xbf59a7d5, v14
	v_add_f32_e32 v20, v49, v20
	v_fma_f32 v15, 0xbf59a7d5, v13, -v15
	v_add_f32_e32 v12, v12, v21
	v_fma_f32 v21, 0x3ee437d1, v14, -v44
	v_mul_f32_e32 v49, 0x3f65296c, v50
	v_add_f32_e32 v16, v16, v18
	v_mul_f32_e32 v18, 0xbf7ee86f, v47
	v_add_f32_e32 v15, v15, v19
	v_add_f32_e32 v19, v21, v22
	v_fmamk_f32 v21, v13, 0x3ee437d1, v49
	v_fmac_f32_e32 v44, 0x3ee437d1, v14
	v_fma_f32 v22, 0x3ee437d1, v13, -v49
	v_fma_f32 v49, 0x3dbcf732, v14, -v18
	v_mul_f32_e32 v51, 0xbf7ee86f, v50
	v_add_f32_e32 v21, v21, v29
	v_add_f32_e32 v29, v44, v30
	;; [unrolled: 1-line block ×4, first 2 shown]
	v_fmamk_f32 v31, v13, 0x3dbcf732, v51
	v_mul_f32_e32 v33, 0x3f4c4adb, v47
	v_fmac_f32_e32 v18, 0x3dbcf732, v14
	v_fma_f32 v44, 0x3dbcf732, v13, -v51
	v_mul_f32_e32 v49, 0x3f4c4adb, v50
	v_add_f32_e32 v31, v31, v32
	v_fma_f32 v32, 0xbf1a4643, v14, -v33
	v_add_f32_e32 v18, v18, v23
	v_add_f32_e32 v23, v44, v10
	v_fmamk_f32 v10, v13, 0xbf1a4643, v49
	v_mul_f32_e32 v44, 0xbeb8f4ab, v47
	v_fmac_f32_e32 v33, 0xbf1a4643, v14
	v_add_f32_e32 v51, v32, v11
	v_fma_f32 v11, 0xbf1a4643, v13, -v49
	v_add_f32_e32 v39, v10, v39
	v_fma_f32 v10, 0x3f6eb680, v14, -v44
	v_mul_f32_e32 v32, 0xbeb8f4ab, v50
	v_add_f32_e32 v49, v33, v6
	v_mul_f32_e32 v6, 0xbe3c28d5, v47
	v_add_f32_e32 v24, v55, v24
	v_add_f32_e32 v52, v11, v7
	;; [unrolled: 1-line block ×3, first 2 shown]
	v_fmamk_f32 v7, v13, 0x3f6eb680, v32
	v_fma_f32 v10, 0x3f6eb680, v13, -v32
	v_fma_f32 v11, 0xbf7ba420, v14, -v6
	v_mul_f32_e32 v32, 0xbe3c28d5, v50
	v_fmac_f32_e32 v6, 0xbf7ba420, v14
	v_add_f32_e32 v36, v7, v36
	v_add_f32_e32 v40, v10, v40
	;; [unrolled: 1-line block ×3, first 2 shown]
	v_fmamk_f32 v7, v13, 0xbf7ba420, v32
	v_mul_f32_e32 v10, 0x3f2c7751, v47
	v_fma_f32 v11, 0xbf7ba420, v13, -v32
	v_mul_f32_e32 v32, 0x3f2c7751, v50
	v_fmac_f32_e32 v44, 0x3f6eb680, v14
	v_add_f32_e32 v41, v7, v41
	v_fma_f32 v7, 0x3f3d2fb0, v14, -v10
	v_add_f32_e32 v38, v6, v38
	v_add_f32_e32 v25, v11, v25
	v_fmamk_f32 v6, v13, 0x3f3d2fb0, v32
	v_mul_f32_e32 v11, 0xbf763a35, v47
	v_add_f32_e32 v37, v44, v37
	v_add_f32_e32 v44, v7, v48
	v_fma_f32 v7, 0x3f3d2fb0, v13, -v32
	v_add_f32_e32 v46, v6, v46
	v_fma_f32 v6, 0xbe8c1d8e, v14, -v11
	v_mul_f32_e32 v32, 0xbf763a35, v50
	v_sub_f32_e32 v47, v1, v3
	v_sub_f32_e32 v50, v0, v2
	v_add_f32_e32 v48, v2, v0
	v_add_f32_e32 v45, v6, v45
	v_fmamk_f32 v6, v13, 0xbe8c1d8e, v32
	v_mul_f32_e32 v2, 0xbe3c28d5, v47
	v_add_f32_e32 v53, v3, v1
	v_mul_f32_e32 v1, 0xbe3c28d5, v50
	v_fmac_f32_e32 v10, 0x3f3d2fb0, v14
	v_add_f32_e32 v43, v7, v43
	v_fmac_f32_e32 v11, 0xbe8c1d8e, v14
	v_fma_f32 v0, 0xbe8c1d8e, v13, -v32
	v_fma_f32 v3, 0xbf7ba420, v48, -v2
	v_add_f32_e32 v54, v6, v17
	v_fmamk_f32 v6, v53, 0xbf7ba420, v1
	v_mul_f32_e32 v7, 0x3eb8f4ab, v47
	v_add_f32_e32 v42, v10, v42
	v_add_f32_e32 v55, v11, v8
	;; [unrolled: 1-line block ×4, first 2 shown]
	v_fmac_f32_e32 v2, 0xbf7ba420, v48
	v_fma_f32 v3, 0xbf7ba420, v53, -v1
	v_add_f32_e32 v1, v6, v12
	v_mul_f32_e32 v6, 0x3eb8f4ab, v50
	v_fma_f32 v8, 0x3f6eb680, v48, -v7
	v_mul_f32_e32 v10, 0xbf06c442, v47
	v_add_f32_e32 v32, v2, v16
	v_fmac_f32_e32 v7, 0x3f6eb680, v48
	v_mul_f32_e32 v11, 0xbf06c442, v50
	v_add_f32_e32 v2, v8, v19
	v_fma_f32 v8, 0x3f6eb680, v53, -v6
	v_fma_f32 v9, 0xbf59a7d5, v48, -v10
	v_fmac_f32_e32 v10, 0xbf59a7d5, v48
	v_add_f32_e32 v33, v3, v15
	v_fmamk_f32 v3, v53, 0x3f6eb680, v6
	v_add_f32_e32 v6, v7, v29
	v_add_f32_e32 v7, v8, v22
	;; [unrolled: 1-line block ×3, first 2 shown]
	v_fmamk_f32 v9, v53, 0xbf59a7d5, v11
	v_fma_f32 v11, 0xbf59a7d5, v53, -v11
	v_mul_f32_e32 v13, 0x3f2c7751, v50
	v_add_f32_e32 v10, v10, v18
	v_mul_f32_e32 v18, 0xbf4c4adb, v47
	v_mul_f32_e32 v17, 0xbf4c4adb, v50
	;; [unrolled: 1-line block ×3, first 2 shown]
	v_add_f32_e32 v3, v3, v21
	v_add_f32_e32 v11, v11, v23
	v_fmamk_f32 v15, v53, 0x3f3d2fb0, v13
	v_fma_f32 v16, 0x3f3d2fb0, v53, -v13
	v_fma_f32 v19, 0xbf1a4643, v48, -v18
	v_fmamk_f32 v20, v53, 0xbf1a4643, v17
	v_fma_f32 v21, 0x3ee437d1, v48, -v22
	v_mul_f32_e32 v23, 0x3f65296c, v50
	v_mul_f32_e32 v30, 0xbf763a35, v50
	v_add_f32_e32 v9, v9, v31
	v_add_f32_e32 v13, v15, v39
	;; [unrolled: 1-line block ×4, first 2 shown]
	v_fma_f32 v19, 0xbf1a4643, v53, -v17
	v_add_f32_e32 v17, v20, v36
	v_add_f32_e32 v20, v21, v24
	v_fmamk_f32 v21, v53, 0x3ee437d1, v23
	v_fma_f32 v23, 0x3ee437d1, v53, -v23
	v_fmamk_f32 v31, v53, 0xbe8c1d8e, v30
	v_mul_lo_u16 v36, v34, 17
	v_mul_f32_e32 v14, 0x3f2c7751, v47
	v_mul_f32_e32 v29, 0xbf763a35, v47
	v_fmac_f32_e32 v18, 0xbf1a4643, v48
	v_fmac_f32_e32 v22, 0x3ee437d1, v48
	v_add_f32_e32 v23, v23, v25
	v_add_f32_e32 v25, v31, v46
	v_mul_f32_e32 v31, 0x3f7ee86f, v47
	v_mul_f32_e32 v35, 0x3f7ee86f, v50
	v_and_b32_e32 v39, 0xffff, v36
	v_fma_f32 v12, 0x3f3d2fb0, v48, -v14
	v_fma_f32 v24, 0xbe8c1d8e, v48, -v29
	v_add_f32_e32 v18, v18, v37
	v_add_f32_e32 v19, v19, v40
	;; [unrolled: 1-line block ×3, first 2 shown]
	v_fma_f32 v37, 0x3dbcf732, v48, -v31
	v_fmamk_f32 v38, v53, 0x3dbcf732, v35
	v_fmac_f32_e32 v31, 0x3dbcf732, v48
	v_fma_f32 v40, 0x3dbcf732, v53, -v35
	v_fmac_f32_e32 v14, 0x3f3d2fb0, v48
	v_fmac_f32_e32 v29, 0xbe8c1d8e, v48
	v_fma_f32 v30, 0xbe8c1d8e, v53, -v30
	v_lshl_add_u32 v144, v39, 3, v143
	v_add_f32_e32 v12, v12, v51
	v_add_f32_e32 v21, v21, v41
	;; [unrolled: 1-line block ×10, first 2 shown]
	ds_write2_b64 v144, v[4:5], v[0:1] offset1:1
	ds_write2_b64 v144, v[2:3], v[8:9] offset0:2 offset1:3
	ds_write2_b64 v144, v[12:13], v[16:17] offset0:4 offset1:5
	ds_write2_b64 v144, v[20:21], v[24:25] offset0:6 offset1:7
	ds_write2_b64 v144, v[35:36], v[37:38] offset0:8 offset1:9
	ds_write2_b64 v144, v[29:30], v[22:23] offset0:10 offset1:11
	ds_write2_b64 v144, v[18:19], v[14:15] offset0:12 offset1:13
	ds_write2_b64 v144, v[10:11], v[6:7] offset0:14 offset1:15
	ds_write_b64 v144, v[32:33] offset:128
	v_add_nc_u32_e32 v8, 0x1400, v141
	v_add_nc_u32_e32 v24, 0x1c00, v141
	s_waitcnt lgkmcnt(0)
	s_barrier
	buffer_gl0_inv
	ds_read2_b64 v[4:7], v141 offset1:68
	ds_read2_b64 v[16:19], v28 offset0:66 offset1:134
	ds_read2_b64 v[0:3], v141 offset0:136 offset1:204
	;; [unrolled: 1-line block ×7, first 2 shown]
                                        ; implicit-def: $vgpr34
	s_and_saveexec_b32 s0, vcc_lo
	s_cbranch_execz .LBB0_3
; %bb.2:
	ds_read_b64 v[32:33], v141 offset:4352
	ds_read_b64 v[34:35], v141 offset:8976
.LBB0_3:
	s_or_b32 exec_lo, exec_lo, s0
	v_and_b32_e32 v36, 0xff, v142
	v_add_nc_u16 v38, v142, 0x44
	v_add_co_u32 v37, null, 0xcc, v142
	v_mov_b32_e32 v46, 3
	v_mul_lo_u16 v36, 0xf1, v36
	v_and_b32_e32 v41, 0xff, v38
	v_mov_b32_e32 v47, 0xf0f1
	v_add_co_u32 v39, null, 0x110, v142
	v_lshrrev_b16 v36, 12, v36
	v_mul_lo_u16 v41, 0xf1, v41
	v_add_co_u32 v40, null, 0x154, v142
	v_add_co_u32 v43, null, 0x198, v142
	v_mul_lo_u16 v44, v36, 17
	v_lshrrev_b16 v41, 12, v41
	v_mul_u32_u24_sdwa v51, v37, v47 dst_sel:DWORD dst_unused:UNUSED_PAD src0_sel:WORD_0 src1_sel:DWORD
	v_add_nc_u16 v42, v142, 0x88
	v_add_co_u32 v48, null, 0x1dc, v142
	v_sub_nc_u16 v44, v142, v44
	v_mul_lo_u16 v49, v41, 17
	v_add_co_u32 v117, s0, 0x220, v142
	v_mul_u32_u24_sdwa v53, v43, v47 dst_sel:DWORD dst_unused:UNUSED_PAD src0_sel:WORD_0 src1_sel:DWORD
	v_lshlrev_b32_sdwa v50, v46, v44 dst_sel:DWORD dst_unused:UNUSED_PAD src0_sel:DWORD src1_sel:BYTE_0
	v_sub_nc_u16 v38, v38, v49
	v_mul_u32_u24_sdwa v49, v39, v47 dst_sel:DWORD dst_unused:UNUSED_PAD src0_sel:WORD_0 src1_sel:DWORD
	v_and_b32_e32 v45, 0xff, v42
	v_mul_u32_u24_sdwa v54, v48, v47 dst_sel:DWORD dst_unused:UNUSED_PAD src0_sel:WORD_0 src1_sel:DWORD
	global_load_dwordx2 v[99:100], v50, s[2:3]
	v_lshrrev_b32_e32 v50, 20, v51
	v_mul_u32_u24_sdwa v51, v40, v47 dst_sel:DWORD dst_unused:UNUSED_PAD src0_sel:WORD_0 src1_sel:DWORD
	v_lshrrev_b32_e32 v49, 20, v49
	v_mul_u32_u24_sdwa v47, v117, v47 dst_sel:DWORD dst_unused:UNUSED_PAD src0_sel:WORD_0 src1_sel:DWORD
	v_lshrrev_b32_e32 v53, 20, v53
	v_mul_lo_u16 v45, 0xf1, v45
	v_lshrrev_b32_e32 v51, 20, v51
	v_mul_lo_u16 v55, v49, 17
	v_lshrrev_b32_e32 v54, 20, v54
	v_lshrrev_b32_e32 v145, 20, v47
	v_mul_lo_u16 v47, v53, 17
	v_mul_lo_u16 v56, v51, 17
	v_lshrrev_b16 v45, 12, v45
	v_sub_nc_u16 v39, v39, v55
	v_mul_lo_u16 v55, v54, 17
	v_sub_nc_u16 v43, v43, v47
	v_sub_nc_u16 v40, v40, v56
	v_mul_lo_u16 v56, v145, 17
	v_mul_lo_u16 v52, v45, 17
	v_lshlrev_b32_sdwa v47, v46, v39 dst_sel:DWORD dst_unused:UNUSED_PAD src0_sel:DWORD src1_sel:WORD_0
	v_sub_nc_u16 v48, v48, v55
	v_lshlrev_b32_sdwa v55, v46, v40 dst_sel:DWORD dst_unused:UNUSED_PAD src0_sel:DWORD src1_sel:WORD_0
	v_sub_nc_u16 v146, v117, v56
	;; [unrolled: 2-line block ×3, first 2 shown]
	v_mul_lo_u16 v52, v50, 17
	s_clause 0x2
	global_load_dwordx2 v[109:110], v47, s[2:3]
	global_load_dwordx2 v[107:108], v55, s[2:3]
	;; [unrolled: 1-line block ×3, first 2 shown]
	v_lshlrev_b32_sdwa v47, v46, v48 dst_sel:DWORD dst_unused:UNUSED_PAD src0_sel:DWORD src1_sel:WORD_0
	v_lshlrev_b32_sdwa v55, v46, v146 dst_sel:DWORD dst_unused:UNUSED_PAD src0_sel:DWORD src1_sel:WORD_0
	v_sub_nc_u16 v37, v37, v52
	v_lshlrev_b32_sdwa v52, v46, v42 dst_sel:DWORD dst_unused:UNUSED_PAD src0_sel:DWORD src1_sel:BYTE_0
	v_mad_u16 v36, v36, 34, v44
	s_clause 0x1
	global_load_dwordx2 v[101:102], v47, s[2:3]
	global_load_dwordx2 v[103:104], v55, s[2:3]
	v_lshlrev_b32_sdwa v47, v46, v38 dst_sel:DWORD dst_unused:UNUSED_PAD src0_sel:DWORD src1_sel:BYTE_0
	v_lshlrev_b32_sdwa v46, v46, v37 dst_sel:DWORD dst_unused:UNUSED_PAD src0_sel:DWORD src1_sel:WORD_0
	s_clause 0x2
	global_load_dwordx2 v[115:116], v47, s[2:3]
	global_load_dwordx2 v[113:114], v52, s[2:3]
	;; [unrolled: 1-line block ×3, first 2 shown]
	v_mov_b32_e32 v46, 34
	v_mad_u16 v37, v50, 34, v37
	v_mad_u16 v43, v53, 34, v43
	;; [unrolled: 1-line block ×3, first 2 shown]
	v_and_b32_e32 v36, 0xff, v36
	v_mul_u32_u24_sdwa v41, v41, v46 dst_sel:DWORD dst_unused:UNUSED_PAD src0_sel:WORD_0 src1_sel:DWORD
	v_mul_u32_u24_sdwa v45, v45, v46 dst_sel:DWORD dst_unused:UNUSED_PAD src0_sel:WORD_0 src1_sel:DWORD
	v_and_b32_e32 v37, 0xffff, v37
	v_mad_u16 v39, v49, 34, v39
	v_mad_u16 v40, v51, 34, v40
	v_add_nc_u32_sdwa v38, v41, v38 dst_sel:DWORD dst_unused:UNUSED_PAD src0_sel:DWORD src1_sel:BYTE_0
	v_add_nc_u32_sdwa v41, v45, v42 dst_sel:DWORD dst_unused:UNUSED_PAD src0_sel:DWORD src1_sel:BYTE_0
	v_and_b32_e32 v42, 0xffff, v43
	v_and_b32_e32 v43, 0xffff, v44
	v_lshl_add_u32 v154, v36, 3, v143
	v_lshl_add_u32 v151, v37, 3, v143
	v_and_b32_e32 v39, 0xffff, v39
	v_and_b32_e32 v40, 0xffff, v40
	v_lshl_add_u32 v147, v43, 3, v143
	v_lshl_add_u32 v153, v38, 3, v143
	;; [unrolled: 1-line block ×6, first 2 shown]
	v_add_co_ci_u32_e64 v118, null, 0, 0, s0
	s_waitcnt vmcnt(0) lgkmcnt(0)
	s_barrier
	buffer_gl0_inv
	v_mul_f32_e32 v36, v17, v100
	v_mul_f32_e32 v37, v16, v100
	v_fma_f32 v16, v16, v99, -v36
	v_fmac_f32_e32 v37, v17, v99
	v_sub_f32_e32 v16, v4, v16
	v_fma_f32 v4, v4, 2.0, -v16
	v_mul_f32_e32 v38, v29, v110
	v_mul_f32_e32 v39, v28, v110
	;; [unrolled: 1-line block ×6, first 2 shown]
	v_fma_f32 v28, v28, v109, -v38
	v_fmac_f32_e32 v43, v25, v105
	v_mul_f32_e32 v44, v27, v102
	v_mul_f32_e32 v45, v26, v102
	;; [unrolled: 1-line block ×4, first 2 shown]
	v_fmac_f32_e32 v39, v29, v109
	v_mul_f32_e32 v17, v19, v116
	v_mul_f32_e32 v36, v18, v116
	;; [unrolled: 1-line block ×6, first 2 shown]
	v_fma_f32 v25, v26, v101, -v44
	v_fmac_f32_e32 v45, v27, v101
	v_fma_f32 v26, v34, v103, -v46
	v_fma_f32 v27, v18, v115, -v17
	v_fmac_f32_e32 v36, v19, v115
	v_fma_f32 v29, v30, v107, -v40
	v_fma_f32 v30, v20, v113, -v48
	v_fmac_f32_e32 v49, v21, v113
	v_fmac_f32_e32 v41, v31, v107
	v_fma_f32 v31, v22, v111, -v50
	v_fmac_f32_e32 v51, v23, v111
	v_fma_f32 v24, v24, v105, -v42
	v_fmac_f32_e32 v47, v35, v103
	v_sub_f32_e32 v17, v5, v37
	v_sub_f32_e32 v137, v32, v26
	;; [unrolled: 1-line block ×17, first 2 shown]
	v_fma_f32 v5, v5, 2.0, -v17
	v_fma_f32 v6, v6, 2.0, -v26
	;; [unrolled: 1-line block ×15, first 2 shown]
	ds_write2_b64 v154, v[4:5], v[16:17] offset1:17
	ds_write2_b64 v153, v[6:7], v[26:27] offset1:17
	;; [unrolled: 1-line block ×8, first 2 shown]
	s_and_saveexec_b32 s0, vcc_lo
	s_cbranch_execz .LBB0_5
; %bb.4:
	v_mad_u16 v0, v145, 34, v146
	v_fma_f32 v1, v33, 2.0, -v138
	v_and_b32_e32 v2, 0xffff, v0
	v_fma_f32 v0, v32, 2.0, -v137
	v_lshl_add_u32 v2, v2, 3, v143
	ds_write2_b64 v2, v[0:1], v[137:138] offset1:17
.LBB0_5:
	s_or_b32 exec_lo, exec_lo, s0
	v_add_co_u32 v127, s0, 0xffffffde, v142
	v_add_co_ci_u32_e64 v128, null, 0, -1, s0
	s_waitcnt lgkmcnt(0)
	v_cndmask_b32_e32 v36, v127, v142, vcc_lo
	s_barrier
	v_cndmask_b32_e64 v37, v128, 0, vcc_lo
	buffer_gl0_inv
	v_add_nc_u32_e32 v159, 0x800, v141
	v_add_nc_u32_e32 v41, 0x1000, v141
	;; [unrolled: 1-line block ×3, first 2 shown]
	v_lshlrev_b64 v[0:1], 7, v[36:37]
	v_add_co_u32 v0, s0, s2, v0
	v_add_co_ci_u32_e64 v1, s0, s3, v1, s0
	v_cmp_lt_u16_e64 s0, 33, v142
	s_clause 0x7
	global_load_dwordx4 v[28:31], v[0:1], off offset:136
	global_load_dwordx4 v[24:27], v[0:1], off offset:152
	;; [unrolled: 1-line block ×8, first 2 shown]
	ds_read2_b64 v[32:35], v141 offset1:68
	ds_read2_b64 v[57:60], v141 offset0:136 offset1:204
	ds_read2_b64 v[129:132], v159 offset0:16 offset1:84
	;; [unrolled: 1-line block ×4, first 2 shown]
	ds_read_b64 v[120:121], v141 offset:8704
	ds_read2_b64 v[172:175], v41 offset0:168 offset1:236
	ds_read2_b64 v[176:179], v40 offset0:48 offset1:116
	;; [unrolled: 1-line block ×3, first 2 shown]
	s_waitcnt vmcnt(0) lgkmcnt(0)
	s_barrier
	buffer_gl0_inv
	v_mul_f32_e32 v43, v35, v29
	v_mul_f32_e32 v44, v58, v31
	;; [unrolled: 1-line block ×5, first 2 shown]
	v_fma_f32 v166, v34, v28, -v43
	v_mul_f32_e32 v53, v178, v9
	v_fma_f32 v125, v57, v30, -v44
	v_fma_f32 v34, v168, v6, -v126
	v_mul_f32_e32 v123, v59, v25
	v_add_f32_e32 v126, v32, v166
	v_mul_f32_e32 v48, v130, v27
	v_mul_f32_e32 v155, v179, v9
	;; [unrolled: 1-line block ×3, first 2 shown]
	v_fma_f32 v167, v59, v24, -v47
	v_fmac_f32_e32 v53, v179, v8
	v_add_f32_e32 v179, v126, v125
	v_mul_f32_e32 v51, v132, v21
	v_mul_f32_e32 v37, v168, v7
	v_fmac_f32_e32 v63, v35, v28
	v_fmac_f32_e32 v123, v60, v24
	v_fma_f32 v62, v129, v26, -v48
	v_fma_f32 v60, v178, v8, -v155
	v_fmac_f32_e32 v56, v121, v2
	v_add_f32_e32 v179, v179, v167
	v_mul_f32_e32 v61, v129, v27
	v_mul_f32_e32 v49, v131, v21
	;; [unrolled: 1-line block ×4, first 2 shown]
	v_fma_f32 v51, v131, v20, -v51
	v_fmac_f32_e32 v37, v169, v6
	v_add_f32_e32 v129, v33, v63
	v_add_f32_e32 v169, v63, v56
	v_sub_f32_e32 v131, v63, v56
	v_add_f32_e32 v63, v62, v60
	v_sub_f32_e32 v121, v62, v60
	v_add_f32_e32 v62, v179, v62
	v_mul_f32_e32 v124, v57, v31
	v_mul_f32_e32 v122, v163, v5
	;; [unrolled: 1-line block ×3, first 2 shown]
	v_fma_f32 v47, v160, v22, -v52
	v_add_f32_e32 v62, v62, v51
	v_mul_f32_e32 v133, v171, v17
	v_mul_f32_e32 v54, v180, v11
	;; [unrolled: 1-line block ×3, first 2 shown]
	v_fmac_f32_e32 v124, v58, v30
	v_fma_f32 v43, v162, v4, -v122
	v_fma_f32 v57, v120, v2, -v165
	v_fmac_f32_e32 v55, v183, v0
	v_add_f32_e32 v62, v62, v47
	v_mul_f32_e32 v134, v173, v19
	v_mul_f32_e32 v140, v177, v15
	;; [unrolled: 1-line block ×3, first 2 shown]
	v_fma_f32 v35, v170, v16, -v133
	v_fmac_f32_e32 v54, v181, v10
	v_fma_f32 v58, v182, v0, -v164
	v_add_f32_e32 v168, v166, v57
	v_sub_f32_e32 v133, v124, v55
	v_mul_f32_e32 v181, 0xbeb8f4ab, v131
	v_mul_f32_e32 v183, 0xbf2c7751, v131
	v_mul_f32_e32 v185, 0xbf65296c, v131
	v_mul_f32_e32 v187, 0xbf7ee86f, v131
	v_mul_f32_e32 v189, 0xbf763a35, v131
	v_mul_f32_e32 v191, 0xbf4c4adb, v131
	v_mul_f32_e32 v193, 0xbf06c442, v131
	v_mul_f32_e32 v195, 0xbe3c28d5, v131
	v_add_f32_e32 v62, v62, v43
	v_mul_f32_e32 v45, v160, v23
	v_mul_f32_e32 v42, v172, v19
	v_fma_f32 v44, v172, v18, -v134
	v_fma_f32 v52, v176, v14, -v140
	;; [unrolled: 1-line block ×3, first 2 shown]
	v_add_f32_e32 v172, v125, v58
	v_sub_f32_e32 v140, v123, v54
	v_add_f32_e32 v180, v129, v124
	v_mul_f32_e32 v160, 0x3eb8f4ab, v133
	v_fma_f32 v214, 0x3f6eb680, v168, -v181
	v_fmac_f32_e32 v181, 0x3f6eb680, v168
	v_fma_f32 v216, 0x3f3d2fb0, v168, -v183
	v_fmac_f32_e32 v183, 0x3f3d2fb0, v168
	v_fma_f32 v218, 0x3ee437d1, v168, -v185
	v_fmac_f32_e32 v185, 0x3ee437d1, v168
	v_fma_f32 v220, 0x3dbcf732, v168, -v187
	v_fmac_f32_e32 v187, 0x3dbcf732, v168
	v_fma_f32 v222, 0xbe8c1d8e, v168, -v189
	v_fmac_f32_e32 v189, 0xbe8c1d8e, v168
	v_fma_f32 v224, 0xbf1a4643, v168, -v191
	v_fmac_f32_e32 v191, 0xbf1a4643, v168
	v_fma_f32 v226, 0xbf59a7d5, v168, -v193
	v_fmac_f32_e32 v193, 0xbf59a7d5, v168
	v_fma_f32 v228, 0xbf7ba420, v168, -v195
	v_fmac_f32_e32 v195, 0xbf7ba420, v168
	v_add_f32_e32 v62, v62, v34
	v_mul_f32_e32 v139, v175, v13
	v_mul_f32_e32 v50, v176, v15
	v_fmac_f32_e32 v61, v130, v26
	v_fmac_f32_e32 v42, v173, v18
	v_add_f32_e32 v173, v124, v55
	v_add_f32_e32 v178, v167, v59
	v_mul_f32_e32 v124, 0xbf06c442, v140
	v_add_f32_e32 v180, v180, v123
	v_fma_f32 v244, 0x3f6eb680, v172, -v160
	v_fmac_f32_e32 v160, 0x3f6eb680, v172
	v_add_f32_e32 v214, v32, v214
	v_add_f32_e32 v181, v32, v181
	;; [unrolled: 1-line block ×17, first 2 shown]
	v_fmac_f32_e32 v49, v132, v20
	v_fma_f32 v48, v174, v12, -v139
	v_fmac_f32_e32 v50, v177, v14
	v_add_f32_e32 v177, v123, v54
	v_sub_f32_e32 v122, v61, v53
	v_add_f32_e32 v120, v61, v53
	v_fma_f32 v123, 0xbf59a7d5, v178, -v124
	v_fmac_f32_e32 v124, 0xbf59a7d5, v178
	v_add_f32_e32 v61, v180, v61
	v_add_f32_e32 v32, v160, v32
	;; [unrolled: 1-line block ×3, first 2 shown]
	v_mul_f32_e32 v39, v162, v5
	v_fmac_f32_e32 v45, v161, v22
	v_sub_f32_e32 v130, v166, v57
	v_add_f32_e32 v61, v61, v49
	v_add_f32_e32 v124, v124, v32
	;; [unrolled: 1-line block ×3, first 2 shown]
	v_fmac_f32_e32 v39, v163, v4
	v_sub_f32_e32 v132, v125, v58
	v_mul_f32_e32 v186, 0xbf65296c, v130
	v_mul_f32_e32 v188, 0xbf7ee86f, v130
	;; [unrolled: 1-line block ×4, first 2 shown]
	v_add_f32_e32 v61, v61, v45
	v_add_f32_e32 v32, v32, v52
	v_mul_f32_e32 v38, v170, v17
	v_sub_f32_e32 v134, v167, v59
	v_mul_f32_e32 v182, 0xbeb8f4ab, v130
	v_mul_f32_e32 v184, 0xbf2c7751, v130
	;; [unrolled: 1-line block ×17, first 2 shown]
	v_fmamk_f32 v219, v169, 0x3ee437d1, v186
	v_fma_f32 v186, 0x3ee437d1, v169, -v186
	v_fmamk_f32 v221, v169, 0x3dbcf732, v188
	v_fma_f32 v188, 0x3dbcf732, v169, -v188
	;; [unrolled: 2-line block ×3, first 2 shown]
	v_fma_f32 v238, 0xbf59a7d5, v172, -v164
	v_fmac_f32_e32 v164, 0xbf59a7d5, v172
	v_add_f32_e32 v61, v61, v39
	v_add_f32_e32 v32, v32, v60
	v_fmac_f32_e32 v38, v171, v16
	v_mul_f32_e32 v171, 0xbf2c7751, v133
	v_mul_f32_e32 v163, 0x3f763a35, v133
	;; [unrolled: 1-line block ×13, first 2 shown]
	v_fmamk_f32 v215, v169, 0x3f6eb680, v182
	v_fma_f32 v182, 0x3f6eb680, v169, -v182
	v_fmamk_f32 v217, v169, 0x3f3d2fb0, v184
	v_fma_f32 v184, 0x3f3d2fb0, v169, -v184
	;; [unrolled: 2-line block ×5, first 2 shown]
	v_fma_f32 v232, 0x3dbcf732, v172, -v170
	v_fmac_f32_e32 v170, 0x3dbcf732, v172
	v_fma_f32 v234, 0xbf1a4643, v172, -v166
	v_fmamk_f32 v235, v173, 0xbf1a4643, v199
	v_fmac_f32_e32 v166, 0xbf1a4643, v172
	v_fma_f32 v199, 0xbf1a4643, v173, -v199
	v_fma_f32 v236, 0xbf7ba420, v172, -v165
	v_fmamk_f32 v237, v173, 0xbf7ba420, v200
	v_fmac_f32_e32 v165, 0xbf7ba420, v172
	v_fma_f32 v200, 0xbf7ba420, v173, -v200
	v_fmamk_f32 v239, v173, 0xbf59a7d5, v201
	v_fma_f32 v201, 0xbf59a7d5, v173, -v201
	v_fma_f32 v169, 0x3f3d2fb0, v178, -v132
	v_fmac_f32_e32 v132, 0x3f3d2fb0, v178
	v_add_f32_e32 v186, v33, v186
	v_add_f32_e32 v188, v33, v188
	;; [unrolled: 1-line block ×6, first 2 shown]
	v_mul_f32_e32 v46, v174, v13
	v_mul_f32_e32 v205, 0xbf65296c, v134
	;; [unrolled: 1-line block ×10, first 2 shown]
	v_fma_f32 v230, 0x3f3d2fb0, v172, -v171
	v_fmamk_f32 v231, v173, 0x3f3d2fb0, v197
	v_fmac_f32_e32 v171, 0x3f3d2fb0, v172
	v_fma_f32 v197, 0x3f3d2fb0, v173, -v197
	v_fmamk_f32 v233, v173, 0x3dbcf732, v198
	v_fma_f32 v198, 0x3dbcf732, v173, -v198
	v_fma_f32 v240, 0xbe8c1d8e, v172, -v163
	v_fmamk_f32 v241, v173, 0xbe8c1d8e, v202
	v_fmac_f32_e32 v163, 0xbe8c1d8e, v172
	v_fma_f32 v202, 0xbe8c1d8e, v173, -v202
	v_fma_f32 v242, 0x3ee437d1, v172, -v162
	v_fmamk_f32 v243, v173, 0x3ee437d1, v203
	v_fmac_f32_e32 v162, 0x3ee437d1, v172
	v_fma_f32 v203, 0x3ee437d1, v173, -v203
	v_fmamk_f32 v245, v173, 0x3f6eb680, v204
	v_fma_f32 v173, 0x3f6eb680, v173, -v204
	v_fma_f32 v247, 0xbf7ba420, v178, -v139
	v_fmac_f32_e32 v139, 0xbf7ba420, v178
	v_fma_f32 v172, 0xbe8c1d8e, v178, -v133
	v_fmac_f32_e32 v133, 0xbe8c1d8e, v178
	v_fmamk_f32 v249, v177, 0xbf7ba420, v207
	v_fma_f32 v207, 0xbf7ba420, v177, -v207
	v_fmamk_f32 v250, v177, 0xbe8c1d8e, v208
	v_fma_f32 v208, 0xbe8c1d8e, v177, -v208
	v_add_f32_e32 v215, v33, v215
	v_add_f32_e32 v182, v33, v182
	;; [unrolled: 1-line block ×13, first 2 shown]
	v_fma_f32 v196, 0x3f3d2fb0, v177, -v209
	v_add_f32_e32 v170, v170, v183
	v_fma_f32 v183, 0x3ee437d1, v63, -v140
	v_add_f32_e32 v166, v166, v185
	v_add_f32_e32 v185, v199, v186
	;; [unrolled: 1-line block ×8, first 2 shown]
	v_fmac_f32_e32 v140, 0x3ee437d1, v63
	v_fmac_f32_e32 v46, v175, v12
	v_fma_f32 v204, 0x3ee437d1, v178, -v156
	v_fmac_f32_e32 v156, 0x3ee437d1, v178
	v_fma_f32 v246, 0xbf1a4643, v178, -v155
	;; [unrolled: 2-line block ×4, first 2 shown]
	v_fmac_f32_e32 v126, 0x3dbcf732, v178
	v_fmamk_f32 v178, v177, 0x3ee437d1, v205
	v_fma_f32 v205, 0x3ee437d1, v177, -v205
	v_fmamk_f32 v248, v177, 0xbf1a4643, v206
	v_fma_f32 v206, 0xbf1a4643, v177, -v206
	v_fmamk_f32 v195, v177, 0x3f3d2fb0, v209
	v_fmamk_f32 v209, v177, 0x3f6eb680, v210
	v_fma_f32 v210, 0x3f6eb680, v177, -v210
	v_fmamk_f32 v251, v177, 0x3dbcf732, v211
	v_fma_f32 v211, 0x3dbcf732, v177, -v211
	v_fmamk_f32 v252, v177, 0xbf59a7d5, v212
	v_fma_f32 v177, 0xbf59a7d5, v177, -v212
	v_add_f32_e32 v182, v197, v182
	v_fmamk_f32 v197, v120, 0xbe8c1d8e, v176
	v_fma_f32 v176, 0xbe8c1d8e, v120, -v176
	v_add_f32_e32 v216, v232, v216
	v_fma_f32 v232, 0x3f6eb680, v63, -v134
	v_add_f32_e32 v217, v233, v217
	v_fmamk_f32 v233, v120, 0x3f6eb680, v213
	v_fmac_f32_e32 v134, 0x3f6eb680, v63
	v_fma_f32 v213, 0x3f6eb680, v120, -v213
	v_add_f32_e32 v184, v198, v184
	v_fmamk_f32 v198, v120, 0x3ee437d1, v161
	v_add_f32_e32 v163, v163, v191
	v_add_f32_e32 v191, v202, v192
	;; [unrolled: 1-line block ×11, first 2 shown]
	v_fma_f32 v57, 0x3ee437d1, v120, -v161
	v_mul_f32_e32 v161, 0xbf06c442, v121
	v_add_f32_e32 v132, v140, v132
	v_mul_f32_e32 v140, 0x3f4c4adb, v122
	v_mul_f32_e32 v125, 0xbf7ee86f, v122
	v_mul_f32_e32 v129, 0xbe3c28d5, v122
	v_mul_f32_e32 v131, 0x3f763a35, v122
	v_mul_f32_e32 v212, 0xbf06c442, v122
	v_add_f32_e32 v162, v162, v193
	v_add_f32_e32 v193, v203, v194
	;; [unrolled: 1-line block ×12, first 2 shown]
	v_fmamk_f32 v164, v120, 0xbf59a7d5, v161
	v_fma_f32 v161, 0xbf59a7d5, v120, -v161
	v_fma_f32 v165, 0xbf1a4643, v63, -v140
	v_mul_f32_e32 v166, 0x3f4c4adb, v121
	v_mul_f32_e32 v122, 0x3f2c7751, v122
	v_add_f32_e32 v126, v126, v162
	v_add_f32_e32 v162, v211, v193
	;; [unrolled: 1-line block ×6, first 2 shown]
	v_fmamk_f32 v165, v120, 0xbf1a4643, v166
	v_fmac_f32_e32 v140, 0xbf1a4643, v63
	v_fma_f32 v166, 0xbf1a4643, v120, -v166
	v_fma_f32 v167, 0x3f3d2fb0, v63, -v122
	v_mul_f32_e32 v174, 0xbf7ee86f, v121
	v_add_f32_e32 v214, v230, v214
	v_add_f32_e32 v215, v231, v215
	;; [unrolled: 1-line block ×3, first 2 shown]
	v_fma_f32 v181, 0xbe8c1d8e, v63, -v131
	v_fmac_f32_e32 v131, 0xbe8c1d8e, v63
	v_add_f32_e32 v190, v240, v224
	v_add_f32_e32 v33, v33, v53
	;; [unrolled: 1-line block ×4, first 2 shown]
	v_sub_f32_e32 v162, v49, v50
	v_add_f32_e32 v123, v167, v123
	v_add_f32_e32 v167, v51, v52
	v_sub_f32_e32 v51, v51, v52
	v_mul_f32_e32 v175, 0xbe3c28d5, v121
	v_fma_f32 v179, 0x3dbcf732, v63, -v125
	v_fmamk_f32 v180, v120, 0x3dbcf732, v174
	v_add_f32_e32 v160, v204, v214
	v_add_f32_e32 v173, v178, v215
	v_add_f32_e32 v168, v168, v190
	v_add_f32_e32 v33, v33, v54
	v_add_f32_e32 v54, v131, v139
	v_fma_f32 v139, 0xbf59a7d5, v63, -v212
	v_mul_f32_e32 v121, 0x3f2c7751, v121
	v_mul_f32_e32 v52, 0xbf763a35, v162
	v_fmac_f32_e32 v122, 0x3f3d2fb0, v63
	v_add_f32_e32 v49, v49, v50
	v_mul_f32_e32 v50, 0xbf763a35, v51
	v_fmac_f32_e32 v125, 0x3dbcf732, v63
	v_fma_f32 v174, 0x3dbcf732, v120, -v174
	v_fma_f32 v230, 0xbf7ba420, v63, -v129
	v_fmamk_f32 v231, v120, 0xbf7ba420, v175
	v_fmac_f32_e32 v129, 0xbf7ba420, v63
	v_fma_f32 v175, 0xbf7ba420, v120, -v175
	v_add_f32_e32 v156, v156, v171
	v_add_f32_e32 v178, v246, v216
	;; [unrolled: 1-line block ×5, first 2 shown]
	v_fmac_f32_e32 v212, 0xbf59a7d5, v63
	v_fmamk_f32 v168, v120, 0x3f3d2fb0, v121
	v_fma_f32 v63, 0x3f3d2fb0, v120, -v121
	v_fma_f32 v120, 0xbe8c1d8e, v167, -v52
	v_add_f32_e32 v121, v122, v124
	v_mul_f32_e32 v122, 0x3f06c442, v162
	v_fmamk_f32 v124, v49, 0xbe8c1d8e, v50
	v_add_f32_e32 v219, v235, v219
	v_add_f32_e32 v171, v205, v182
	;; [unrolled: 1-line block ×7, first 2 shown]
	v_fmac_f32_e32 v52, 0xbe8c1d8e, v167
	v_fma_f32 v160, 0xbf59a7d5, v167, -v122
	v_add_f32_e32 v61, v124, v61
	v_mul_f32_e32 v124, 0x3f06c442, v51
	v_add_f32_e32 v218, v234, v218
	v_add_f32_e32 v203, v245, v229
	;; [unrolled: 1-line block ×5, first 2 shown]
	v_fma_f32 v50, 0xbe8c1d8e, v49, -v50
	v_add_f32_e32 v52, v52, v62
	v_add_f32_e32 v62, v160, v156
	v_fmamk_f32 v156, v49, 0xbf59a7d5, v124
	v_fma_f32 v124, 0xbf59a7d5, v49, -v124
	v_mul_f32_e32 v160, 0x3f2c7751, v51
	v_add_f32_e32 v186, v236, v220
	v_add_f32_e32 v199, v237, v221
	v_add_f32_e32 v184, v247, v218
	v_add_f32_e32 v189, v252, v203
	v_add_f32_e32 v129, v129, v155
	v_add_f32_e32 v155, v197, v204
	v_add_f32_e32 v50, v50, v125
	v_mul_f32_e32 v125, 0x3f2c7751, v162
	v_fmac_f32_e32 v122, 0xbf59a7d5, v167
	v_add_f32_e32 v53, v124, v53
	v_fmamk_f32 v124, v49, 0x3f3d2fb0, v160
	v_add_f32_e32 v188, v238, v222
	v_add_f32_e32 v172, v172, v186
	;; [unrolled: 1-line block ×5, first 2 shown]
	v_fma_f32 v168, 0x3f3d2fb0, v167, -v125
	v_add_f32_e32 v122, v122, v129
	v_mul_f32_e32 v129, 0xbf65296c, v162
	v_fmac_f32_e32 v125, 0x3f3d2fb0, v167
	v_fma_f32 v160, 0x3f3d2fb0, v49, -v160
	v_add_f32_e32 v124, v124, v155
	v_mul_f32_e32 v155, 0xbf65296c, v51
	v_add_f32_e32 v200, v239, v223
	v_add_f32_e32 v169, v169, v188
	;; [unrolled: 1-line block ×6, first 2 shown]
	v_fma_f32 v168, 0x3ee437d1, v167, -v129
	v_add_f32_e32 v54, v125, v54
	v_add_f32_e32 v59, v160, v59
	v_mul_f32_e32 v125, 0xbe3c28d5, v162
	v_fmamk_f32 v160, v49, 0x3ee437d1, v155
	v_add_f32_e32 v201, v241, v225
	v_add_f32_e32 v186, v195, v200
	;; [unrolled: 1-line block ×5, first 2 shown]
	v_fmac_f32_e32 v129, 0x3ee437d1, v167
	v_fma_f32 v155, 0x3ee437d1, v49, -v155
	v_fma_f32 v168, 0xbf7ba420, v167, -v125
	v_add_f32_e32 v55, v160, v55
	v_mul_f32_e32 v160, 0xbe3c28d5, v51
	v_add_f32_e32 v187, v209, v201
	v_add_f32_e32 v134, v198, v186
	v_add_f32_e32 v58, v129, v58
	v_add_f32_e32 v129, v155, v133
	v_add_f32_e32 v56, v168, v56
	v_mul_f32_e32 v133, 0x3f7ee86f, v162
	v_fmamk_f32 v155, v49, 0xbf7ba420, v160
	v_fmac_f32_e32 v125, 0xbf7ba420, v167
	v_fma_f32 v160, 0xbf7ba420, v49, -v160
	v_mul_f32_e32 v168, 0x3f7ee86f, v51
	v_add_f32_e32 v164, v164, v187
	v_add_f32_e32 v130, v212, v130
	v_fma_f32 v169, 0x3dbcf732, v167, -v133
	v_add_f32_e32 v134, v155, v134
	v_add_f32_e32 v125, v125, v132
	v_add_f32_e32 v57, v160, v57
	v_fmamk_f32 v132, v49, 0x3dbcf732, v168
	v_mul_f32_e32 v155, 0xbeb8f4ab, v162
	v_fmac_f32_e32 v133, 0x3dbcf732, v167
	v_fma_f32 v160, 0x3dbcf732, v49, -v168
	v_add_f32_e32 v202, v243, v227
	v_add_f32_e32 v132, v132, v164
	v_mul_f32_e32 v164, 0xbeb8f4ab, v51
	v_fma_f32 v168, 0x3f6eb680, v167, -v155
	v_add_f32_e32 v130, v133, v130
	v_add_f32_e32 v133, v160, v161
	v_mul_f32_e32 v160, 0xbf4c4adb, v162
	v_fmamk_f32 v161, v49, 0x3f6eb680, v164
	v_add_f32_e32 v162, v168, v163
	v_fmac_f32_e32 v155, 0x3f6eb680, v167
	v_fma_f32 v163, 0x3f6eb680, v49, -v164
	v_fma_f32 v164, 0xbf1a4643, v167, -v160
	v_mul_f32_e32 v51, 0xbf4c4adb, v51
	v_add_f32_e32 v63, v63, v177
	v_add_f32_e32 v126, v155, v126
	v_sub_f32_e32 v155, v45, v46
	v_add_f32_e32 v123, v164, v123
	v_sub_f32_e32 v164, v47, v48
	v_add_f32_e32 v140, v163, v140
	v_fmamk_f32 v163, v49, 0xbf1a4643, v51
	v_fmac_f32_e32 v160, 0xbf1a4643, v167
	v_add_f32_e32 v47, v47, v48
	v_mul_f32_e32 v48, 0xbf4c4adb, v155
	v_fma_f32 v49, 0xbf1a4643, v49, -v51
	v_add_f32_e32 v45, v45, v46
	v_mul_f32_e32 v46, 0xbf4c4adb, v164
	v_add_f32_e32 v182, v248, v217
	v_add_f32_e32 v188, v251, v202
	;; [unrolled: 1-line block ×3, first 2 shown]
	v_fma_f32 v163, 0xbf1a4643, v47, -v48
	v_add_f32_e32 v121, v160, v121
	v_add_f32_e32 v49, v49, v63
	v_fmamk_f32 v63, v45, 0xbf1a4643, v46
	v_mul_f32_e32 v160, 0x3f763a35, v155
	v_add_f32_e32 v171, v231, v182
	v_add_f32_e32 v165, v165, v188
	;; [unrolled: 1-line block ×3, first 2 shown]
	v_fmac_f32_e32 v48, 0xbf1a4643, v47
	v_fma_f32 v46, 0xbf1a4643, v45, -v46
	v_add_f32_e32 v61, v63, v61
	v_fma_f32 v63, 0xbe8c1d8e, v47, -v160
	v_mul_f32_e32 v163, 0x3f763a35, v164
	v_add_f32_e32 v156, v156, v171
	v_add_f32_e32 v161, v161, v165
	;; [unrolled: 1-line block ×4, first 2 shown]
	v_mul_f32_e32 v50, 0xbeb8f4ab, v155
	v_add_f32_e32 v52, v63, v62
	v_fmamk_f32 v62, v45, 0xbe8c1d8e, v163
	v_fma_f32 v63, 0xbe8c1d8e, v45, -v163
	v_mul_f32_e32 v165, 0xbeb8f4ab, v164
	v_fmac_f32_e32 v160, 0xbe8c1d8e, v47
	v_fma_f32 v163, 0x3f6eb680, v47, -v50
	v_add_f32_e32 v62, v62, v156
	v_add_f32_e32 v53, v63, v53
	v_fmamk_f32 v63, v45, 0x3f6eb680, v165
	v_mul_f32_e32 v156, 0xbf06c442, v155
	v_add_f32_e32 v122, v160, v122
	v_add_f32_e32 v60, v163, v60
	v_fmac_f32_e32 v50, 0x3f6eb680, v47
	v_fma_f32 v160, 0x3f6eb680, v45, -v165
	v_mul_f32_e32 v163, 0xbf06c442, v164
	v_add_f32_e32 v63, v63, v124
	v_fma_f32 v124, 0xbf59a7d5, v47, -v156
	v_add_f32_e32 v50, v50, v54
	v_add_f32_e32 v54, v160, v59
	v_fmamk_f32 v59, v45, 0xbf59a7d5, v163
	v_mul_f32_e32 v160, 0x3f7ee86f, v155
	v_add_f32_e32 v124, v124, v131
	v_fma_f32 v131, 0xbf59a7d5, v45, -v163
	v_fmac_f32_e32 v156, 0xbf59a7d5, v47
	v_add_f32_e32 v55, v59, v55
	v_fma_f32 v59, 0x3dbcf732, v47, -v160
	v_mul_f32_e32 v163, 0x3f7ee86f, v164
	v_add_f32_e32 v129, v131, v129
	v_mul_f32_e32 v131, 0xbf2c7751, v155
	v_add_f32_e32 v139, v169, v139
	v_add_f32_e32 v58, v156, v58
	;; [unrolled: 1-line block ×3, first 2 shown]
	v_fmamk_f32 v59, v45, 0x3dbcf732, v163
	v_fmac_f32_e32 v160, 0x3dbcf732, v47
	v_fma_f32 v156, 0x3dbcf732, v45, -v163
	v_fma_f32 v163, 0x3f3d2fb0, v47, -v131
	v_mul_f32_e32 v165, 0xbf2c7751, v164
	v_add_f32_e32 v59, v59, v134
	v_add_f32_e32 v125, v160, v125
	;; [unrolled: 1-line block ×4, first 2 shown]
	v_fmamk_f32 v139, v45, 0x3f3d2fb0, v165
	v_mul_f32_e32 v156, 0xbe3c28d5, v155
	v_fmac_f32_e32 v131, 0x3f3d2fb0, v47
	v_mul_f32_e32 v160, 0xbe3c28d5, v164
	v_mul_f32_e32 v155, 0x3f65296c, v155
	v_add_f32_e32 v132, v139, v132
	v_fma_f32 v139, 0xbf7ba420, v47, -v156
	v_add_f32_e32 v130, v131, v130
	v_fmamk_f32 v131, v45, 0xbf7ba420, v160
	v_fmac_f32_e32 v156, 0xbf7ba420, v47
	v_fma_f32 v163, 0x3f3d2fb0, v45, -v165
	v_add_f32_e32 v139, v139, v162
	v_fma_f32 v160, 0xbf7ba420, v45, -v160
	v_add_f32_e32 v131, v131, v161
	;; [unrolled: 2-line block ×3, first 2 shown]
	v_sub_f32_e32 v156, v39, v42
	v_add_f32_e32 v133, v163, v133
	v_mul_f32_e32 v162, 0x3f65296c, v164
	v_add_f32_e32 v123, v161, v123
	v_add_f32_e32 v161, v43, v44
	v_mul_f32_e32 v163, 0xbf06c442, v156
	v_sub_f32_e32 v43, v43, v44
	v_add_f32_e32 v140, v160, v140
	v_fmamk_f32 v160, v45, 0x3ee437d1, v162
	v_fma_f32 v44, 0x3ee437d1, v45, -v162
	v_add_f32_e32 v39, v39, v42
	v_fma_f32 v42, 0xbf59a7d5, v161, -v163
	v_mul_f32_e32 v45, 0xbf06c442, v43
	v_fmac_f32_e32 v155, 0x3ee437d1, v47
	v_add_f32_e32 v44, v44, v49
	v_add_f32_e32 v47, v160, v51
	;; [unrolled: 1-line block ×3, first 2 shown]
	v_fmamk_f32 v49, v39, 0xbf59a7d5, v45
	v_mul_f32_e32 v120, 0x3f65296c, v156
	v_add_f32_e32 v51, v155, v121
	v_fma_f32 v45, 0xbf59a7d5, v39, -v45
	v_mul_f32_e32 v121, 0x3f65296c, v43
	v_add_f32_e32 v49, v49, v61
	v_fma_f32 v61, 0x3ee437d1, v161, -v120
	v_mul_f32_e32 v155, 0xbf7ee86f, v156
	v_add_f32_e32 v45, v45, v46
	v_fmamk_f32 v46, v39, 0x3ee437d1, v121
	v_fmac_f32_e32 v120, 0x3ee437d1, v161
	v_add_f32_e32 v52, v61, v52
	v_fma_f32 v61, 0x3ee437d1, v39, -v121
	v_mul_f32_e32 v121, 0xbf7ee86f, v43
	v_add_f32_e32 v46, v46, v62
	v_fma_f32 v62, 0x3dbcf732, v161, -v155
	v_add_f32_e32 v120, v120, v122
	v_add_f32_e32 v53, v61, v53
	v_mul_f32_e32 v61, 0x3f4c4adb, v156
	v_fmac_f32_e32 v155, 0x3dbcf732, v161
	v_add_f32_e32 v60, v62, v60
	v_fmamk_f32 v62, v39, 0x3dbcf732, v121
	v_fma_f32 v121, 0x3dbcf732, v39, -v121
	v_fma_f32 v122, 0xbf1a4643, v161, -v61
	v_mul_f32_e32 v160, 0x3f4c4adb, v43
	v_add_f32_e32 v50, v155, v50
	v_add_f32_e32 v62, v62, v63
	;; [unrolled: 1-line block ×4, first 2 shown]
	v_fmamk_f32 v121, v39, 0xbf1a4643, v160
	v_mul_f32_e32 v122, 0xbeb8f4ab, v156
	v_fmac_f32_e32 v61, 0xbf1a4643, v161
	v_fma_f32 v124, 0xbf1a4643, v39, -v160
	v_mul_f32_e32 v155, 0xbeb8f4ab, v43
	v_add_f32_e32 v55, v121, v55
	v_fma_f32 v121, 0x3f6eb680, v161, -v122
	v_add_f32_e32 v58, v61, v58
	v_add_f32_e32 v61, v124, v129
	v_fmamk_f32 v124, v39, 0x3f6eb680, v155
	v_mul_f32_e32 v129, 0xbe3c28d5, v156
	v_add_f32_e32 v56, v121, v56
	v_fma_f32 v121, 0x3f6eb680, v39, -v155
	v_mul_f32_e32 v155, 0xbe3c28d5, v43
	v_add_f32_e32 v59, v124, v59
	v_fma_f32 v124, 0xbf7ba420, v161, -v129
	v_fmac_f32_e32 v122, 0x3f6eb680, v161
	v_add_f32_e32 v57, v121, v57
	v_mul_f32_e32 v121, 0x3f2c7751, v156
	v_fmac_f32_e32 v129, 0xbf7ba420, v161
	v_add_f32_e32 v124, v124, v134
	v_fma_f32 v134, 0xbf7ba420, v39, -v155
	v_mul_f32_e32 v160, 0x3f2c7751, v43
	v_add_f32_e32 v122, v122, v125
	v_fmamk_f32 v125, v39, 0xbf7ba420, v155
	v_fma_f32 v155, 0x3f3d2fb0, v161, -v121
	v_add_f32_e32 v129, v129, v130
	v_add_f32_e32 v130, v134, v133
	v_fmamk_f32 v133, v39, 0x3f3d2fb0, v160
	v_mul_f32_e32 v134, 0xbf763a35, v156
	v_mul_f32_e32 v43, 0xbf763a35, v43
	v_add_f32_e32 v125, v125, v132
	v_add_f32_e32 v132, v155, v139
	v_fma_f32 v139, 0x3f3d2fb0, v39, -v160
	v_add_f32_e32 v131, v133, v131
	v_fma_f32 v133, 0xbe8c1d8e, v161, -v134
	v_fmamk_f32 v155, v39, 0xbe8c1d8e, v43
	v_sub_f32_e32 v156, v37, v38
	v_sub_f32_e32 v160, v34, v35
	v_fmac_f32_e32 v163, 0xbf59a7d5, v161
	v_add_f32_e32 v123, v133, v123
	v_add_f32_e32 v133, v155, v47
	v_add_f32_e32 v155, v34, v35
	v_mul_f32_e32 v47, 0xbe3c28d5, v156
	v_fma_f32 v34, 0xbe8c1d8e, v39, -v43
	v_add_f32_e32 v39, v37, v38
	v_mul_f32_e32 v35, 0xbe3c28d5, v160
	v_add_f32_e32 v48, v163, v48
	v_fmac_f32_e32 v121, 0x3f3d2fb0, v161
	v_fma_f32 v37, 0xbf7ba420, v155, -v47
	v_mul_f32_e32 v43, 0x3eb8f4ab, v156
	v_fmamk_f32 v38, v39, 0xbf7ba420, v35
	v_fmac_f32_e32 v47, 0xbf7ba420, v155
	v_add_f32_e32 v121, v121, v126
	v_add_f32_e32 v126, v139, v140
	v_fmac_f32_e32 v134, 0xbe8c1d8e, v161
	v_add_f32_e32 v161, v34, v44
	v_add_f32_e32 v34, v37, v42
	v_fma_f32 v37, 0xbf7ba420, v39, -v35
	v_fma_f32 v42, 0x3f6eb680, v155, -v43
	v_add_f32_e32 v35, v38, v49
	v_mul_f32_e32 v38, 0x3eb8f4ab, v160
	v_add_f32_e32 v139, v47, v48
	v_mul_f32_e32 v47, 0xbf06c442, v156
	v_add_f32_e32 v140, v37, v45
	v_add_f32_e32 v37, v42, v52
	v_fmamk_f32 v42, v39, 0x3f6eb680, v38
	v_fmac_f32_e32 v43, 0x3f6eb680, v155
	v_fma_f32 v44, 0x3f6eb680, v39, -v38
	v_mul_f32_e32 v45, 0xbf06c442, v160
	v_fma_f32 v48, 0xbf59a7d5, v155, -v47
	v_add_f32_e32 v134, v134, v51
	v_add_f32_e32 v38, v42, v46
	;; [unrolled: 1-line block ×4, first 2 shown]
	v_fmamk_f32 v46, v39, 0xbf59a7d5, v45
	v_add_f32_e32 v44, v48, v60
	v_mul_f32_e32 v51, 0x3f2c7751, v156
	v_fmac_f32_e32 v47, 0xbf59a7d5, v155
	v_fma_f32 v48, 0xbf59a7d5, v39, -v45
	v_mul_f32_e32 v49, 0x3f2c7751, v160
	v_add_f32_e32 v45, v46, v62
	v_fma_f32 v52, 0x3f3d2fb0, v155, -v51
	v_add_f32_e32 v46, v47, v50
	v_add_f32_e32 v47, v48, v54
	v_mul_f32_e32 v54, 0xbf4c4adb, v156
	v_fmamk_f32 v50, v39, 0x3f3d2fb0, v49
	v_add_f32_e32 v48, v52, v63
	v_fmac_f32_e32 v51, 0x3f3d2fb0, v155
	v_fma_f32 v52, 0x3f3d2fb0, v39, -v49
	v_fma_f32 v53, 0xbf1a4643, v155, -v54
	v_add_f32_e32 v49, v50, v55
	v_mul_f32_e32 v55, 0xbf4c4adb, v160
	v_add_f32_e32 v50, v51, v58
	v_add_f32_e32 v51, v52, v61
	;; [unrolled: 1-line block ×3, first 2 shown]
	v_mul_f32_e32 v60, 0x3f65296c, v160
	v_fmamk_f32 v53, v39, 0xbf1a4643, v55
	v_fma_f32 v55, 0xbf1a4643, v39, -v55
	v_mul_f32_e32 v62, 0xbf763a35, v156
	v_mul_f32_e32 v58, 0x3f65296c, v156
	v_fmac_f32_e32 v54, 0xbf1a4643, v155
	v_add_f32_e32 v53, v53, v59
	v_fmamk_f32 v59, v39, 0x3ee437d1, v60
	v_add_f32_e32 v55, v55, v57
	v_mul_f32_e32 v63, 0xbf763a35, v160
	v_fma_f32 v56, 0x3ee437d1, v155, -v58
	v_add_f32_e32 v54, v54, v122
	v_add_f32_e32 v57, v59, v125
	v_fma_f32 v59, 0x3ee437d1, v39, -v60
	v_fma_f32 v60, 0xbe8c1d8e, v155, -v62
	v_fmac_f32_e32 v62, 0xbe8c1d8e, v155
	v_mul_f32_e32 v122, 0x3f7ee86f, v156
	v_mul_f32_e32 v120, 0x3f7ee86f, v160
	v_fmamk_f32 v61, v39, 0xbe8c1d8e, v63
	v_add_f32_e32 v56, v56, v124
	v_add_f32_e32 v62, v62, v121
	v_cndmask_b32_e64 v121, 0, 0x242, s0
	v_fmac_f32_e32 v58, 0x3ee437d1, v155
	v_fma_f32 v63, 0xbe8c1d8e, v39, -v63
	v_fma_f32 v124, 0x3dbcf732, v155, -v122
	v_fmamk_f32 v125, v39, 0x3dbcf732, v120
	v_add_nc_u32_e32 v36, v36, v121
	v_fmac_f32_e32 v122, 0x3dbcf732, v155
	v_fma_f32 v39, 0x3dbcf732, v39, -v120
	v_add_f32_e32 v60, v60, v132
	v_add_f32_e32 v61, v61, v131
	v_lshl_add_u32 v155, v36, 3, v143
	v_add_f32_e32 v120, v124, v123
	v_add_f32_e32 v121, v125, v133
	;; [unrolled: 1-line block ×4, first 2 shown]
	v_add_nc_u32_e32 v36, 0x800, v155
	v_add_f32_e32 v58, v58, v129
	v_add_f32_e32 v59, v59, v130
	;; [unrolled: 1-line block ×3, first 2 shown]
	ds_write2_b64 v155, v[32:33], v[34:35] offset1:34
	ds_write2_b64 v155, v[37:38], v[44:45] offset0:68 offset1:102
	ds_write2_b64 v155, v[48:49], v[52:53] offset0:136 offset1:170
	;; [unrolled: 1-line block ×7, first 2 shown]
	ds_write_b64 v155, v[139:140] offset:4352
	v_add_nc_u32_e32 v42, 0x1400, v141
	v_add_nc_u32_e32 v160, 0x1c00, v141
	s_waitcnt lgkmcnt(0)
	s_barrier
	buffer_gl0_inv
	ds_read2_b64 v[36:39], v141 offset1:68
	ds_read2_b64 v[48:51], v41 offset0:66 offset1:134
	ds_read2_b64 v[32:35], v141 offset0:136 offset1:204
	;; [unrolled: 1-line block ×7, first 2 shown]
	s_and_saveexec_b32 s0, vcc_lo
	s_cbranch_execz .LBB0_7
; %bb.6:
	ds_read_b64 v[139:140], v141 offset:4352
	ds_read_b64 v[137:138], v141 offset:8976
	v_mov_b32_e32 v128, v118
	v_mov_b32_e32 v127, v117
.LBB0_7:
	s_or_b32 exec_lo, exec_lo, s0
	v_add_co_u32 v131, s0, s2, v119
	v_add_co_ci_u32_e64 v132, null, s3, 0, s0
	v_lshlrev_b64 v[161:162], 3, v[127:128]
	v_add_co_u32 v117, s0, 0x1000, v131
	v_add_co_ci_u32_e64 v118, s0, 0, v132, s0
	v_add_co_u32 v123, s0, 0x1800, v131
	v_add_co_ci_u32_e64 v124, s0, 0, v132, s0
	s_clause 0x4
	global_load_dwordx2 v[133:134], v[117:118], off offset:392
	global_load_dwordx2 v[129:130], v[117:118], off offset:936
	;; [unrolled: 1-line block ×5, first 2 shown]
	v_add_co_u32 v117, s0, 0x2000, v131
	v_add_co_ci_u32_e64 v118, s0, 0, v132, s0
	s_clause 0x1
	global_load_dwordx2 v[131:132], v[123:124], off offset:1064
	global_load_dwordx2 v[123:124], v[123:124], off offset:1608
	v_lshl_add_u32 v156, v142, 3, v143
	global_load_dwordx2 v[127:128], v[117:118], off offset:104
	v_add_co_u32 v117, s0, s2, v161
	v_add_co_ci_u32_e64 v118, s0, s3, v162, s0
	v_add_co_u32 v117, s0, 0x1000, v117
	v_add_co_ci_u32_e64 v118, s0, 0, v118, s0
	global_load_dwordx2 v[117:118], v[117:118], off offset:392
	s_waitcnt vmcnt(8) lgkmcnt(6)
	v_mul_f32_e32 v161, v49, v134
	v_mul_f32_e32 v162, v48, v134
	s_waitcnt vmcnt(7)
	v_mul_f32_e32 v163, v51, v130
	v_mul_f32_e32 v164, v50, v130
	s_waitcnt vmcnt(6) lgkmcnt(4)
	v_mul_f32_e32 v165, v61, v126
	v_mul_f32_e32 v166, v60, v126
	s_waitcnt vmcnt(5)
	v_mul_f32_e32 v167, v63, v122
	v_mul_f32_e32 v168, v62, v122
	;; [unrolled: 6-line block ×4, first 2 shown]
	v_fma_f32 v48, v48, v133, -v161
	v_fmac_f32_e32 v162, v49, v133
	v_fma_f32 v50, v50, v129, -v163
	v_fmac_f32_e32 v164, v51, v129
	;; [unrolled: 2-line block ×4, first 2 shown]
	v_fma_f32 v56, v56, v119, -v169
	s_waitcnt vmcnt(0)
	v_mul_f32_e32 v161, v138, v118
	v_mul_f32_e32 v163, v137, v118
	v_fmac_f32_e32 v170, v57, v119
	v_fma_f32 v58, v58, v131, -v171
	v_fmac_f32_e32 v172, v59, v131
	v_fma_f32 v62, v52, v123, -v173
	;; [unrolled: 2-line block ×3, first 2 shown]
	v_fmac_f32_e32 v176, v55, v127
	v_sub_f32_e32 v48, v36, v48
	v_sub_f32_e32 v49, v37, v162
	;; [unrolled: 1-line block ×4, first 2 shown]
	v_fma_f32 v137, v137, v117, -v161
	v_fmac_f32_e32 v163, v138, v117
	v_sub_f32_e32 v52, v32, v60
	v_sub_f32_e32 v53, v33, v166
	;; [unrolled: 1-line block ×12, first 2 shown]
	v_fma_f32 v36, v36, 2.0, -v48
	v_fma_f32 v37, v37, 2.0, -v49
	;; [unrolled: 1-line block ×4, first 2 shown]
	v_sub_f32_e32 v137, v139, v137
	v_sub_f32_e32 v138, v140, v163
	v_fma_f32 v32, v32, 2.0, -v52
	v_fma_f32 v33, v33, 2.0, -v53
	;; [unrolled: 1-line block ×12, first 2 shown]
	ds_write_b64 v156, v[48:49] offset:4624
	ds_write2_b64 v141, v[36:37], v[38:39] offset1:68
	ds_write_b64 v156, v[50:51] offset:5168
	ds_write_b64 v141, v[32:33] offset:1088
	;; [unrolled: 1-line block ×9, first 2 shown]
	ds_write2_b64 v159, v[40:41], v[42:43] offset0:152 offset1:220
	ds_write2_b64 v160, v[60:61], v[62:63] offset0:90 offset1:158
	s_and_saveexec_b32 s0, vcc_lo
	s_cbranch_execz .LBB0_9
; %bb.8:
	v_fma_f32 v33, v140, 2.0, -v138
	v_fma_f32 v32, v139, 2.0, -v137
	ds_write_b64 v141, v[32:33] offset:4352
	ds_write_b64 v156, v[137:138] offset:8976
.LBB0_9:
	s_or_b32 exec_lo, exec_lo, s0
	v_add_co_u32 v32, s0, 0x2420, v158
	v_add_co_ci_u32_e64 v33, s0, 0, v157, s0
	s_waitcnt lgkmcnt(0)
	s_barrier
	buffer_gl0_inv
	s_clause 0x2
	global_load_dwordx2 v[48:49], v[135:136], off offset:1056
	global_load_dwordx2 v[50:51], v[32:33], off offset:544
	;; [unrolled: 1-line block ×3, first 2 shown]
	v_add_co_u32 v34, s0, 0x2800, v158
	v_add_co_ci_u32_e64 v35, s0, 0, v157, s0
	s_clause 0x1
	global_load_dwordx2 v[54:55], v[32:33], off offset:1632
	global_load_dwordx2 v[56:57], v[34:35], off offset:1184
	v_add_co_u32 v32, s0, 0x3000, v158
	v_add_co_ci_u32_e64 v33, s0, 0, v157, s0
	s_clause 0x4
	global_load_dwordx2 v[58:59], v[34:35], off offset:1728
	global_load_dwordx2 v[60:61], v[32:33], off offset:224
	;; [unrolled: 1-line block ×5, first 2 shown]
	v_add_co_u32 v32, s0, 0x3800, v158
	v_add_co_ci_u32_e64 v33, s0, 0, v157, s0
	s_clause 0x2
	global_load_dwordx2 v[163:164], v[32:33], off offset:352
	global_load_dwordx2 v[165:166], v[32:33], off offset:896
	;; [unrolled: 1-line block ×3, first 2 shown]
	v_add_co_u32 v34, s0, 0x4000, v158
	v_add_co_ci_u32_e64 v35, s0, 0, v157, s0
	s_clause 0x3
	global_load_dwordx2 v[157:158], v[32:33], off offset:1984
	global_load_dwordx2 v[169:170], v[34:35], off offset:480
	global_load_dwordx2 v[171:172], v[34:35], off offset:1024
	global_load_dwordx2 v[173:174], v[34:35], off offset:1568
	ds_read2_b64 v[32:35], v141 offset1:68
	ds_read2_b64 v[36:39], v141 offset0:136 offset1:204
	v_add_nc_u32_e32 v139, 0x800, v141
	v_add_nc_u32_e32 v62, 0x1000, v141
	;; [unrolled: 1-line block ×3, first 2 shown]
	ds_read2_b64 v[40:43], v139 offset0:16 offset1:84
	ds_read2_b64 v[44:47], v139 offset0:152 offset1:220
	s_waitcnt vmcnt(16) lgkmcnt(3)
	v_mul_f32_e32 v63, v33, v49
	v_mul_f32_e32 v176, v32, v49
	s_waitcnt vmcnt(15)
	v_mul_f32_e32 v177, v35, v51
	v_mul_f32_e32 v49, v34, v51
	s_waitcnt vmcnt(14) lgkmcnt(2)
	v_mul_f32_e32 v51, v36, v53
	v_fma_f32 v175, v32, v48, -v63
	v_fmac_f32_e32 v176, v33, v48
	v_fma_f32 v48, v34, v50, -v177
	v_fmac_f32_e32 v49, v35, v50
	ds_read2_b64 v[32:35], v62 offset0:32 offset1:100
	v_mul_f32_e32 v63, v37, v53
	s_waitcnt vmcnt(13)
	v_mul_f32_e32 v177, v39, v55
	v_mul_f32_e32 v53, v38, v55
	v_fmac_f32_e32 v51, v37, v52
	s_waitcnt vmcnt(12) lgkmcnt(2)
	v_mul_f32_e32 v55, v40, v57
	v_fma_f32 v50, v36, v52, -v63
	v_mul_f32_e32 v63, v41, v57
	v_fma_f32 v52, v38, v54, -v177
	v_fmac_f32_e32 v53, v39, v54
	ds_read2_b64 v[36:39], v62 offset0:168 offset1:236
	s_waitcnt vmcnt(11)
	v_mul_f32_e32 v177, v43, v59
	v_fma_f32 v54, v40, v56, -v63
	v_mul_f32_e32 v57, v42, v59
	s_waitcnt vmcnt(10) lgkmcnt(2)
	v_mul_f32_e32 v63, v45, v61
	v_fmac_f32_e32 v55, v41, v56
	v_fma_f32 v56, v42, v58, -v177
	v_mul_f32_e32 v59, v44, v61
	v_fmac_f32_e32 v57, v43, v58
	ds_read2_b64 v[40:43], v140 offset0:48 offset1:116
	s_waitcnt vmcnt(9)
	v_mul_f32_e32 v177, v47, v136
	v_fma_f32 v58, v44, v60, -v63
	v_mul_f32_e32 v61, v46, v136
	s_waitcnt vmcnt(8) lgkmcnt(2)
	v_mul_f32_e32 v63, v33, v160
	v_mul_f32_e32 v136, v32, v160
	v_fmac_f32_e32 v59, v45, v60
	v_fma_f32 v60, v46, v135, -v177
	v_fmac_f32_e32 v61, v47, v135
	ds_read2_b64 v[44:47], v140 offset0:184 offset1:252
	v_fma_f32 v135, v32, v159, -v63
	v_fmac_f32_e32 v136, v33, v159
	ds_read_b64 v[32:33], v141 offset:8704
	s_waitcnt vmcnt(7)
	v_mul_f32_e32 v160, v34, v162
	v_mul_f32_e32 v177, v35, v162
	s_waitcnt vmcnt(5) lgkmcnt(3)
	v_mul_f32_e32 v63, v39, v166
	v_mul_f32_e32 v162, v38, v166
	v_fmac_f32_e32 v160, v35, v161
	v_mul_f32_e32 v35, v36, v164
	v_fma_f32 v159, v34, v161, -v177
	v_mul_f32_e32 v34, v37, v164
	s_waitcnt vmcnt(4) lgkmcnt(2)
	v_mul_f32_e32 v164, v41, v168
	v_fma_f32 v161, v38, v165, -v63
	v_fmac_f32_e32 v35, v37, v163
	v_mul_f32_e32 v37, v40, v168
	v_fma_f32 v34, v36, v163, -v34
	s_waitcnt vmcnt(3)
	v_mul_f32_e32 v163, v43, v158
	v_fmac_f32_e32 v162, v39, v165
	v_mul_f32_e32 v39, v42, v158
	s_waitcnt vmcnt(1) lgkmcnt(1)
	v_mul_f32_e32 v165, v47, v172
	v_fma_f32 v36, v40, v167, -v164
	v_fmac_f32_e32 v37, v41, v167
	s_waitcnt vmcnt(0) lgkmcnt(0)
	v_mul_f32_e32 v40, v33, v174
	v_mul_f32_e32 v41, v32, v174
	;; [unrolled: 1-line block ×5, first 2 shown]
	v_fma_f32 v38, v42, v157, -v163
	v_fmac_f32_e32 v39, v43, v157
	v_fma_f32 v163, v46, v171, -v165
	v_fma_f32 v40, v32, v173, -v40
	v_fmac_f32_e32 v41, v33, v173
	v_fma_f32 v157, v44, v169, -v63
	v_fmac_f32_e32 v158, v45, v169
	v_fmac_f32_e32 v164, v47, v171
	ds_write2_b64 v141, v[175:176], v[48:49] offset1:68
	ds_write2_b64 v141, v[50:51], v[52:53] offset0:136 offset1:204
	ds_write2_b64 v139, v[54:55], v[56:57] offset0:16 offset1:84
	;; [unrolled: 1-line block ×7, first 2 shown]
	ds_write_b64 v141, v[40:41] offset:8704
	s_waitcnt lgkmcnt(0)
	s_barrier
	buffer_gl0_inv
	ds_read2_b64 v[36:39], v141 offset1:68
	ds_read2_b64 v[160:163], v141 offset0:136 offset1:204
	ds_read_b64 v[60:61], v141 offset:8704
	ds_read2_b64 v[40:43], v140 offset0:184 offset1:252
	ds_read2_b64 v[52:55], v139 offset0:16 offset1:84
	;; [unrolled: 1-line block ×6, first 2 shown]
	s_waitcnt lgkmcnt(0)
	s_barrier
	buffer_gl0_inv
	v_add_f32_e32 v135, v36, v38
	v_add_f32_e32 v158, v37, v39
	v_sub_f32_e32 v63, v39, v61
	v_add_f32_e32 v157, v42, v160
	v_add_f32_e32 v136, v43, v161
	v_add_f32_e32 v159, v135, v160
	v_add_f32_e32 v164, v158, v161
	v_sub_f32_e32 v135, v160, v42
	v_sub_f32_e32 v158, v161, v43
	v_add_f32_e32 v161, v40, v162
	v_add_f32_e32 v165, v159, v162
	v_add_f32_e32 v164, v164, v163
	v_add_f32_e32 v160, v41, v163
	v_sub_f32_e32 v159, v162, v40
	;; [unrolled: 6-line block ×3, first 2 shown]
	v_add_f32_e32 v169, v163, v54
	v_add_f32_e32 v170, v164, v55
	v_sub_f32_e32 v168, v57, v51
	v_add_f32_e32 v163, v48, v58
	v_add_f32_e32 v164, v49, v59
	;; [unrolled: 1-line block ×4, first 2 shown]
	v_sub_f32_e32 v56, v58, v48
	v_sub_f32_e32 v57, v59, v49
	v_add_f32_e32 v172, v45, v55
	v_add_f32_e32 v58, v169, v58
	;; [unrolled: 1-line block ×4, first 2 shown]
	v_sub_f32_e32 v54, v54, v44
	v_sub_f32_e32 v55, v55, v45
	v_add_f32_e32 v58, v58, v32
	v_add_f32_e32 v59, v59, v33
	;; [unrolled: 1-line block ×4, first 2 shown]
	v_mul_f32_e32 v174, 0xbf65296c, v63
	v_add_f32_e32 v58, v58, v34
	v_add_f32_e32 v59, v59, v35
	v_mul_f32_e32 v175, 0xbf4c4adb, v63
	v_add_f32_e32 v171, v46, v52
	v_add_f32_e32 v169, v47, v53
	;; [unrolled: 1-line block ×4, first 2 shown]
	v_mul_f32_e32 v58, 0xbeb8f4ab, v63
	v_mul_f32_e32 v59, 0xbf2c7751, v63
	v_sub_f32_e32 v52, v52, v46
	v_add_f32_e32 v48, v48, v50
	v_add_f32_e32 v49, v49, v51
	v_mul_f32_e32 v50, 0xbf7ee86f, v63
	v_mul_f32_e32 v51, 0xbf763a35, v63
	v_sub_f32_e32 v53, v53, v47
	v_add_f32_e32 v44, v48, v44
	v_add_f32_e32 v45, v49, v45
	v_mul_f32_e32 v48, 0xbf06c442, v63
	v_mul_f32_e32 v49, 0xbe3c28d5, v63
	;; [unrolled: 1-line block ×3, first 2 shown]
	v_add_f32_e32 v44, v44, v46
	v_add_f32_e32 v45, v45, v47
	v_fmamk_f32 v46, v173, 0x3f6eb680, v58
	v_fma_f32 v47, 0x3f6eb680, v173, -v58
	v_fmamk_f32 v58, v173, 0x3f3d2fb0, v59
	v_add_f32_e32 v40, v44, v40
	v_add_f32_e32 v41, v45, v41
	v_fma_f32 v59, 0x3f3d2fb0, v173, -v59
	v_fmamk_f32 v176, v173, 0x3ee437d1, v174
	v_fma_f32 v44, 0x3ee437d1, v173, -v174
	v_fmamk_f32 v45, v173, 0x3dbcf732, v50
	v_fma_f32 v50, 0x3dbcf732, v173, -v50
	v_add_f32_e32 v40, v40, v42
	v_add_f32_e32 v41, v41, v43
	v_fmamk_f32 v42, v173, 0xbe8c1d8e, v51
	v_fma_f32 v43, 0xbe8c1d8e, v173, -v51
	v_fmamk_f32 v51, v173, 0xbf1a4643, v175
	v_fma_f32 v174, 0xbf1a4643, v173, -v175
	;; [unrolled: 2-line block ×4, first 2 shown]
	v_mul_f32_e32 v173, 0x3f3d2fb0, v39
	v_mul_f32_e32 v178, 0x3ee437d1, v39
	;; [unrolled: 1-line block ×7, first 2 shown]
	v_sub_f32_e32 v38, v38, v60
	v_add_f32_e32 v47, v36, v47
	v_add_f32_e32 v58, v36, v58
	;; [unrolled: 1-line block ×4, first 2 shown]
	v_fmamk_f32 v183, v38, 0x3eb8f4ab, v63
	v_fmac_f32_e32 v63, 0xbeb8f4ab, v38
	v_fmamk_f32 v184, v38, 0x3f2c7751, v173
	v_fmac_f32_e32 v173, 0xbf2c7751, v38
	v_fmamk_f32 v185, v38, 0x3f65296c, v178
	v_fmac_f32_e32 v178, 0xbf65296c, v38
	v_fmamk_f32 v186, v38, 0x3f7ee86f, v179
	v_fmac_f32_e32 v179, 0xbf7ee86f, v38
	v_fmamk_f32 v187, v38, 0x3f763a35, v180
	v_fmac_f32_e32 v180, 0xbf763a35, v38
	v_fmamk_f32 v188, v38, 0x3f4c4adb, v181
	v_fmac_f32_e32 v181, 0xbf4c4adb, v38
	v_fmamk_f32 v189, v38, 0x3f06c442, v182
	v_fmac_f32_e32 v182, 0xbf06c442, v38
	v_fmamk_f32 v190, v38, 0x3e3c28d5, v39
	v_fmac_f32_e32 v39, 0xbe3c28d5, v38
	v_add_f32_e32 v38, v36, v46
	v_add_f32_e32 v46, v37, v183
	;; [unrolled: 1-line block ×30, first 2 shown]
	v_mul_f32_e32 v40, 0xbf2c7751, v158
	v_mul_f32_e32 v41, 0xbf7ee86f, v158
	;; [unrolled: 1-line block ×8, first 2 shown]
	v_fmamk_f32 v193, v157, 0x3f3d2fb0, v40
	v_fma_f32 v40, 0x3f3d2fb0, v157, -v40
	v_fmamk_f32 v194, v157, 0x3dbcf732, v41
	v_fma_f32 v41, 0x3dbcf732, v157, -v41
	;; [unrolled: 2-line block ×8, first 2 shown]
	v_mul_f32_e32 v158, 0x3f3d2fb0, v136
	v_mul_f32_e32 v201, 0x3dbcf732, v136
	;; [unrolled: 1-line block ×8, first 2 shown]
	v_fmamk_f32 v207, v135, 0x3f2c7751, v158
	v_fmac_f32_e32 v158, 0xbf2c7751, v135
	v_fmamk_f32 v208, v135, 0x3f7ee86f, v201
	v_fmac_f32_e32 v201, 0xbf7ee86f, v135
	;; [unrolled: 2-line block ×8, first 2 shown]
	v_mul_f32_e32 v135, 0xbf65296c, v162
	v_add_f32_e32 v40, v40, v47
	v_add_f32_e32 v47, v158, v63
	;; [unrolled: 1-line block ×4, first 2 shown]
	v_fmamk_f32 v221, v161, 0x3ee437d1, v135
	v_fma_f32 v135, 0x3ee437d1, v161, -v135
	v_mul_f32_e32 v136, 0x3ee437d1, v160
	v_add_f32_e32 v63, v208, v183
	v_add_f32_e32 v46, v207, v46
	v_mul_f32_e32 v216, 0x3e3c28d5, v162
	v_add_f32_e32 v40, v135, v40
	v_fmamk_f32 v157, v159, 0x3f65296c, v136
	v_fmac_f32_e32 v136, 0xbf65296c, v159
	v_mul_f32_e32 v135, 0xbf1a4643, v160
	v_add_f32_e32 v44, v60, v44
	v_add_f32_e32 v60, v202, v178
	;; [unrolled: 1-line block ×4, first 2 shown]
	v_fmamk_f32 v136, v159, 0x3f4c4adb, v135
	v_fmamk_f32 v223, v161, 0xbf7ba420, v216
	v_add_f32_e32 v41, v41, v59
	v_add_f32_e32 v59, v201, v173
	;; [unrolled: 1-line block ×4, first 2 shown]
	v_mul_f32_e32 v136, 0xbf7ba420, v160
	v_fmac_f32_e32 v135, 0xbf4c4adb, v159
	v_mul_f32_e32 v215, 0xbf4c4adb, v162
	v_mul_f32_e32 v217, 0x3f763a35, v162
	;; [unrolled: 1-line block ×3, first 2 shown]
	v_fmamk_f32 v157, v159, 0xbe3c28d5, v136
	v_fmac_f32_e32 v136, 0x3e3c28d5, v159
	v_mul_f32_e32 v219, 0xbeb8f4ab, v162
	v_mul_f32_e32 v220, 0xbf7ee86f, v162
	;; [unrolled: 1-line block ×3, first 2 shown]
	v_add_f32_e32 v50, v61, v50
	v_add_f32_e32 v60, v136, v60
	v_mul_f32_e32 v136, 0xbe8c1d8e, v160
	v_add_f32_e32 v61, v203, v179
	v_add_f32_e32 v59, v135, v59
	;; [unrolled: 1-line block ×3, first 2 shown]
	v_fmamk_f32 v222, v161, 0xbf1a4643, v215
	v_fmamk_f32 v158, v159, 0xbf763a35, v136
	v_fmac_f32_e32 v136, 0x3f763a35, v159
	v_fma_f32 v215, 0xbf1a4643, v161, -v215
	v_fma_f32 v216, 0xbf7ba420, v161, -v216
	v_fmamk_f32 v224, v161, 0xbe8c1d8e, v217
	v_fma_f32 v217, 0xbe8c1d8e, v161, -v217
	v_fmamk_f32 v225, v161, 0x3f3d2fb0, v218
	v_fma_f32 v218, 0x3f3d2fb0, v161, -v218
	v_fmamk_f32 v226, v161, 0x3f6eb680, v219
	v_fma_f32 v219, 0x3f6eb680, v161, -v219
	v_fmamk_f32 v227, v161, 0x3dbcf732, v220
	v_fma_f32 v220, 0x3dbcf732, v161, -v220
	v_fmamk_f32 v228, v161, 0xbf59a7d5, v162
	v_fma_f32 v161, 0xbf59a7d5, v161, -v162
	v_add_f32_e32 v162, v209, v184
	v_add_f32_e32 v173, v210, v185
	;; [unrolled: 1-line block ×3, first 2 shown]
	v_mul_f32_e32 v136, 0x3f3d2fb0, v160
	v_add_f32_e32 v176, v211, v186
	v_add_f32_e32 v178, v204, v180
	;; [unrolled: 1-line block ×4, first 2 shown]
	v_fmamk_f32 v162, v159, 0xbf2c7751, v136
	v_fmac_f32_e32 v136, 0x3f2c7751, v159
	v_mul_f32_e32 v173, 0x3f6eb680, v160
	v_add_f32_e32 v180, v205, v181
	v_add_f32_e32 v38, v193, v38
	;; [unrolled: 1-line block ×4, first 2 shown]
	v_fmamk_f32 v176, v159, 0x3eb8f4ab, v173
	v_fmac_f32_e32 v173, 0xbeb8f4ab, v159
	v_mul_f32_e32 v178, 0x3dbcf732, v160
	v_mul_f32_e32 v160, 0xbf59a7d5, v160
	v_add_f32_e32 v179, v212, v187
	v_add_f32_e32 v38, v221, v38
	;; [unrolled: 1-line block ×4, first 2 shown]
	v_fmamk_f32 v180, v159, 0x3f06c442, v160
	v_fmac_f32_e32 v160, 0xbf06c442, v159
	v_add_f32_e32 v182, v206, v182
	v_add_f32_e32 v183, v214, v189
	;; [unrolled: 1-line block ×3, first 2 shown]
	v_fmamk_f32 v179, v159, 0x3f7ee86f, v178
	v_add_f32_e32 v39, v160, v39
	v_mul_f32_e32 v160, 0xbf7ee86f, v53
	v_fmac_f32_e32 v178, 0xbf7ee86f, v159
	v_add_f32_e32 v58, v194, v58
	v_add_f32_e32 v41, v215, v41
	v_add_f32_e32 v44, v216, v44
	v_fmamk_f32 v161, v171, 0x3dbcf732, v160
	v_fma_f32 v160, 0x3dbcf732, v171, -v160
	v_add_f32_e32 v159, v178, v182
	v_add_f32_e32 v178, v180, v183
	v_add_f32_e32 v58, v222, v58
	v_add_f32_e32 v38, v161, v38
	v_mul_f32_e32 v161, 0x3dbcf732, v169
	v_add_f32_e32 v40, v160, v40
	v_mul_f32_e32 v160, 0xbe3c28d5, v53
	v_add_f32_e32 v45, v196, v45
	v_add_f32_e32 v50, v217, v50
	v_fmamk_f32 v180, v52, 0x3f7ee86f, v161
	v_fmac_f32_e32 v161, 0xbf7ee86f, v52
	v_add_f32_e32 v42, v197, v42
	v_add_f32_e32 v45, v224, v45
	v_add_f32_e32 v43, v190, v43
	v_add_f32_e32 v46, v180, v46
	v_add_f32_e32 v47, v161, v47
	v_fmamk_f32 v161, v171, 0xbf7ba420, v160
	v_fma_f32 v160, 0xbf7ba420, v171, -v160
	v_add_f32_e32 v42, v225, v42
	v_add_f32_e32 v43, v218, v43
	v_add_f32_e32 v51, v198, v51
	v_add_f32_e32 v58, v161, v58
	v_mul_f32_e32 v161, 0xbf7ba420, v169
	v_add_f32_e32 v41, v160, v41
	v_mul_f32_e32 v160, 0x3f763a35, v53
	v_add_f32_e32 v51, v226, v51
	v_add_f32_e32 v174, v191, v174
	v_fmamk_f32 v180, v52, 0x3e3c28d5, v161
	v_fmac_f32_e32 v161, 0xbe3c28d5, v52
	v_add_f32_e32 v175, v199, v175
	v_add_f32_e32 v48, v192, v48
	;; [unrolled: 18-line block ×3, first 2 shown]
	v_add_f32_e32 v60, v161, v60
	v_fmamk_f32 v161, v171, 0x3f6eb680, v160
	v_fma_f32 v160, 0x3f6eb680, v171, -v160
	v_add_f32_e32 v45, v161, v45
	v_mul_f32_e32 v161, 0x3f6eb680, v169
	v_add_f32_e32 v50, v160, v50
	v_mul_f32_e32 v160, 0xbf65296c, v53
	v_fmamk_f32 v180, v52, 0xbeb8f4ab, v161
	v_fmac_f32_e32 v161, 0x3eb8f4ab, v52
	v_add_f32_e32 v158, v180, v158
	v_add_f32_e32 v61, v161, v61
	v_fmamk_f32 v161, v171, 0x3ee437d1, v160
	v_fma_f32 v160, 0x3ee437d1, v171, -v160
	v_add_f32_e32 v42, v161, v42
	v_mul_f32_e32 v161, 0x3ee437d1, v169
	v_add_f32_e32 v43, v160, v43
	v_mul_f32_e32 v160, 0xbf06c442, v53
	v_fmamk_f32 v180, v52, 0x3f65296c, v161
	v_fmac_f32_e32 v161, 0xbf65296c, v52
	v_add_f32_e32 v162, v180, v162
	v_add_f32_e32 v136, v161, v136
	v_fmamk_f32 v161, v171, 0xbf59a7d5, v160
	v_fma_f32 v160, 0xbf59a7d5, v171, -v160
	v_add_f32_e32 v51, v161, v51
	v_mul_f32_e32 v161, 0xbf59a7d5, v169
	v_add_f32_e32 v160, v160, v174
	v_fmamk_f32 v180, v52, 0x3f06c442, v161
	v_fmac_f32_e32 v161, 0xbf06c442, v52
	v_add_f32_e32 v176, v180, v176
	v_add_f32_e32 v161, v161, v173
	v_mul_f32_e32 v173, 0x3f4c4adb, v53
	v_mul_f32_e32 v53, 0x3f2c7751, v53
	v_fmamk_f32 v174, v171, 0xbf1a4643, v173
	v_fma_f32 v173, 0xbf1a4643, v171, -v173
	v_add_f32_e32 v174, v174, v175
	v_mul_f32_e32 v175, 0xbf1a4643, v169
	v_mul_f32_e32 v169, 0x3f3d2fb0, v169
	v_add_f32_e32 v48, v173, v48
	v_fmamk_f32 v173, v171, 0x3f3d2fb0, v53
	v_fma_f32 v53, 0x3f3d2fb0, v171, -v53
	v_fmamk_f32 v180, v52, 0xbf4c4adb, v175
	v_fmac_f32_e32 v175, 0x3f4c4adb, v52
	v_fmamk_f32 v171, v52, 0xbf2c7751, v169
	v_fmac_f32_e32 v169, 0x3f2c7751, v52
	v_add_f32_e32 v173, v173, v177
	v_add_f32_e32 v49, v53, v49
	;; [unrolled: 1-line block ×3, first 2 shown]
	v_mul_f32_e32 v159, 0xbf763a35, v55
	v_mul_f32_e32 v175, 0xbe8c1d8e, v172
	v_add_f32_e32 v39, v169, v39
	v_mul_f32_e32 v169, 0x3f06c442, v55
	v_add_f32_e32 v171, v171, v178
	v_fmamk_f32 v177, v170, 0xbe8c1d8e, v159
	v_fmamk_f32 v53, v54, 0x3f763a35, v175
	v_fma_f32 v159, 0xbe8c1d8e, v170, -v159
	v_fmac_f32_e32 v175, 0xbf763a35, v54
	v_add_f32_e32 v179, v180, v179
	v_add_f32_e32 v38, v177, v38
	v_mul_f32_e32 v177, 0xbf59a7d5, v172
	v_add_f32_e32 v46, v53, v46
	v_fmamk_f32 v53, v170, 0xbf59a7d5, v169
	v_add_f32_e32 v40, v159, v40
	v_add_f32_e32 v47, v175, v47
	v_fmamk_f32 v159, v54, 0xbf06c442, v177
	v_fmac_f32_e32 v177, 0x3f06c442, v54
	v_add_f32_e32 v53, v53, v58
	v_mul_f32_e32 v58, 0x3f2c7751, v55
	v_add_f32_e32 v63, v159, v63
	v_fma_f32 v159, 0xbf59a7d5, v170, -v169
	v_mul_f32_e32 v169, 0x3f3d2fb0, v172
	v_fmamk_f32 v175, v170, 0x3f3d2fb0, v58
	v_add_f32_e32 v59, v177, v59
	v_fma_f32 v58, 0x3f3d2fb0, v170, -v58
	v_add_f32_e32 v41, v159, v41
	v_fmamk_f32 v159, v54, 0xbf2c7751, v169
	v_add_f32_e32 v135, v175, v135
	v_mul_f32_e32 v175, 0xbf65296c, v55
	v_mul_f32_e32 v177, 0x3ee437d1, v172
	v_fmac_f32_e32 v169, 0x3f2c7751, v54
	v_add_f32_e32 v157, v159, v157
	v_add_f32_e32 v44, v58, v44
	v_fmamk_f32 v159, v170, 0x3ee437d1, v175
	v_fmamk_f32 v58, v54, 0x3f65296c, v177
	v_add_f32_e32 v60, v169, v60
	v_mul_f32_e32 v169, 0xbf7ba420, v172
	v_fmac_f32_e32 v177, 0xbf65296c, v54
	v_add_f32_e32 v45, v159, v45
	v_mul_f32_e32 v159, 0xbe3c28d5, v55
	v_add_f32_e32 v58, v58, v158
	v_fma_f32 v158, 0x3ee437d1, v170, -v175
	v_add_f32_e32 v61, v177, v61
	v_mul_f32_e32 v177, 0x3dbcf732, v172
	v_fmamk_f32 v175, v170, 0xbf7ba420, v159
	v_fma_f32 v159, 0xbf7ba420, v170, -v159
	v_add_f32_e32 v50, v158, v50
	v_fmamk_f32 v158, v54, 0x3e3c28d5, v169
	v_fmac_f32_e32 v169, 0xbe3c28d5, v54
	v_add_f32_e32 v42, v175, v42
	v_mul_f32_e32 v175, 0x3f7ee86f, v55
	v_add_f32_e32 v43, v159, v43
	v_add_f32_e32 v158, v158, v162
	;; [unrolled: 1-line block ×3, first 2 shown]
	v_fmamk_f32 v159, v54, 0xbf7ee86f, v177
	v_fmamk_f32 v162, v170, 0x3dbcf732, v175
	v_fma_f32 v169, 0x3dbcf732, v170, -v175
	v_mul_f32_e32 v175, 0x3f6eb680, v172
	v_mul_f32_e32 v172, 0xbf1a4643, v172
	v_add_f32_e32 v159, v159, v176
	v_add_f32_e32 v51, v162, v51
	v_mul_f32_e32 v162, 0xbeb8f4ab, v55
	v_add_f32_e32 v160, v169, v160
	v_fmamk_f32 v169, v54, 0x3eb8f4ab, v175
	v_fmac_f32_e32 v175, 0xbeb8f4ab, v54
	v_mul_f32_e32 v55, 0xbf4c4adb, v55
	v_fmamk_f32 v176, v170, 0x3f6eb680, v162
	v_fma_f32 v162, 0x3f6eb680, v170, -v162
	v_fmac_f32_e32 v177, 0x3f7ee86f, v54
	v_add_f32_e32 v52, v175, v52
	v_fmamk_f32 v175, v54, 0x3f4c4adb, v172
	v_add_f32_e32 v174, v176, v174
	v_fmamk_f32 v176, v170, 0xbf1a4643, v55
	v_add_f32_e32 v48, v162, v48
	v_mul_f32_e32 v162, 0xbf4c4adb, v168
	v_fma_f32 v55, 0xbf1a4643, v170, -v55
	v_fmac_f32_e32 v172, 0xbf4c4adb, v54
	v_add_f32_e32 v170, v175, v171
	v_mul_f32_e32 v171, 0xbf1a4643, v167
	v_fmamk_f32 v54, v165, 0xbf1a4643, v162
	v_add_f32_e32 v49, v55, v49
	v_add_f32_e32 v39, v172, v39
	v_mul_f32_e32 v172, 0xbe8c1d8e, v167
	v_fmamk_f32 v55, v166, 0x3f4c4adb, v171
	v_add_f32_e32 v38, v54, v38
	v_mul_f32_e32 v54, 0x3f763a35, v168
	v_fma_f32 v162, 0xbf1a4643, v165, -v162
	v_fmac_f32_e32 v171, 0xbf4c4adb, v166
	v_add_f32_e32 v46, v55, v46
	v_fmamk_f32 v55, v166, 0xbf763a35, v172
	v_fmamk_f32 v175, v165, 0xbe8c1d8e, v54
	v_add_f32_e32 v40, v162, v40
	v_mul_f32_e32 v162, 0xbeb8f4ab, v168
	v_fma_f32 v54, 0xbe8c1d8e, v165, -v54
	v_fmac_f32_e32 v172, 0x3f763a35, v166
	v_add_f32_e32 v55, v55, v63
	v_mul_f32_e32 v63, 0x3f6eb680, v167
	v_add_f32_e32 v47, v171, v47
	v_fmamk_f32 v171, v165, 0x3f6eb680, v162
	v_add_f32_e32 v41, v54, v41
	v_add_f32_e32 v54, v172, v59
	v_mul_f32_e32 v59, 0xbf06c442, v168
	v_fmamk_f32 v172, v166, 0x3eb8f4ab, v63
	v_add_f32_e32 v135, v171, v135
	v_fma_f32 v162, 0x3f6eb680, v165, -v162
	v_fmac_f32_e32 v63, 0xbeb8f4ab, v166
	v_fmamk_f32 v171, v165, 0xbf59a7d5, v59
	v_add_f32_e32 v157, v172, v157
	v_mul_f32_e32 v172, 0xbf59a7d5, v167
	v_add_f32_e32 v44, v162, v44
	v_fma_f32 v59, 0xbf59a7d5, v165, -v59
	v_add_f32_e32 v45, v171, v45
	v_mul_f32_e32 v171, 0x3dbcf732, v167
	v_fmamk_f32 v162, v166, 0x3f06c442, v172
	v_fmac_f32_e32 v172, 0xbf06c442, v166
	v_add_f32_e32 v60, v63, v60
	v_mul_f32_e32 v63, 0x3f7ee86f, v168
	v_add_f32_e32 v50, v59, v50
	v_add_f32_e32 v53, v175, v53
	;; [unrolled: 1-line block ×3, first 2 shown]
	v_fmamk_f32 v61, v166, 0xbf7ee86f, v171
	v_fmamk_f32 v175, v165, 0x3dbcf732, v63
	v_fma_f32 v63, 0x3dbcf732, v165, -v63
	v_fmac_f32_e32 v171, 0x3f7ee86f, v166
	v_add_f32_e32 v58, v162, v58
	v_add_f32_e32 v61, v61, v158
	v_mul_f32_e32 v158, 0x3f3d2fb0, v167
	v_mul_f32_e32 v162, 0xbf2c7751, v168
	v_add_f32_e32 v43, v63, v43
	v_add_f32_e32 v63, v171, v136
	v_mul_f32_e32 v136, 0xbe3c28d5, v168
	v_fmamk_f32 v171, v166, 0x3f2c7751, v158
	v_fmamk_f32 v172, v165, 0x3f3d2fb0, v162
	v_fma_f32 v162, 0x3f3d2fb0, v165, -v162
	v_add_f32_e32 v161, v177, v161
	v_fmac_f32_e32 v158, 0xbf2c7751, v166
	v_add_f32_e32 v159, v171, v159
	v_mul_f32_e32 v171, 0xbf7ba420, v167
	v_add_f32_e32 v51, v172, v51
	v_fmamk_f32 v172, v165, 0xbf7ba420, v136
	v_add_f32_e32 v160, v162, v160
	v_mul_f32_e32 v162, 0x3f65296c, v168
	v_fmamk_f32 v168, v166, 0x3e3c28d5, v171
	v_fma_f32 v136, 0xbf7ba420, v165, -v136
	v_fmac_f32_e32 v171, 0xbe3c28d5, v166
	v_mul_f32_e32 v167, 0x3ee437d1, v167
	v_add_f32_e32 v158, v158, v161
	v_add_f32_e32 v161, v172, v174
	v_fmamk_f32 v172, v165, 0x3ee437d1, v162
	v_add_f32_e32 v48, v136, v48
	v_add_f32_e32 v52, v171, v52
	v_fmamk_f32 v136, v166, 0xbf65296c, v167
	v_mul_f32_e32 v171, 0xbf06c442, v57
	v_fma_f32 v162, 0x3ee437d1, v165, -v162
	v_fmac_f32_e32 v167, 0x3f65296c, v166
	v_mul_f32_e32 v165, 0xbf59a7d5, v164
	v_add_f32_e32 v136, v136, v170
	v_fmamk_f32 v166, v163, 0xbf59a7d5, v171
	v_add_f32_e32 v49, v162, v49
	v_add_f32_e32 v39, v167, v39
	v_mul_f32_e32 v162, 0x3f65296c, v57
	v_fmamk_f32 v167, v56, 0x3f06c442, v165
	v_fmac_f32_e32 v165, 0xbf06c442, v56
	v_add_f32_e32 v38, v166, v38
	v_fma_f32 v166, 0xbf59a7d5, v163, -v171
	v_fmamk_f32 v170, v163, 0x3ee437d1, v162
	v_add_f32_e32 v46, v167, v46
	v_mul_f32_e32 v167, 0x3ee437d1, v164
	v_add_f32_e32 v47, v165, v47
	v_mul_f32_e32 v165, 0xbf7ee86f, v57
	v_add_f32_e32 v40, v166, v40
	v_add_f32_e32 v53, v170, v53
	v_fmamk_f32 v166, v56, 0xbf65296c, v167
	v_fma_f32 v162, 0x3ee437d1, v163, -v162
	v_mul_f32_e32 v170, 0x3dbcf732, v164
	v_fmamk_f32 v171, v163, 0x3dbcf732, v165
	v_fmac_f32_e32 v167, 0x3f65296c, v56
	v_add_f32_e32 v55, v166, v55
	v_add_f32_e32 v41, v162, v41
	v_fmamk_f32 v162, v56, 0x3f7ee86f, v170
	v_add_f32_e32 v166, v171, v135
	v_mul_f32_e32 v135, 0x3f4c4adb, v57
	v_fma_f32 v165, 0x3dbcf732, v163, -v165
	v_add_f32_e32 v54, v167, v54
	v_fmac_f32_e32 v170, 0xbf7ee86f, v56
	v_add_f32_e32 v157, v162, v157
	v_mul_f32_e32 v162, 0xbf1a4643, v164
	v_fmamk_f32 v167, v163, 0xbf1a4643, v135
	v_add_f32_e32 v44, v165, v44
	v_mul_f32_e32 v165, 0xbeb8f4ab, v57
	v_add_f32_e32 v42, v175, v42
	v_add_f32_e32 v60, v170, v60
	v_fmamk_f32 v170, v56, 0xbf4c4adb, v162
	v_add_f32_e32 v45, v167, v45
	v_fmac_f32_e32 v162, 0x3f4c4adb, v56
	v_fmamk_f32 v167, v163, 0x3f6eb680, v165
	v_fma_f32 v135, 0xbf1a4643, v163, -v135
	v_add_f32_e32 v58, v170, v58
	v_mul_f32_e32 v170, 0x3f6eb680, v164
	v_add_f32_e32 v59, v162, v59
	v_add_f32_e32 v162, v167, v42
	v_mul_f32_e32 v42, 0xbe3c28d5, v57
	v_add_f32_e32 v50, v135, v50
	v_fmamk_f32 v135, v56, 0x3eb8f4ab, v170
	v_fma_f32 v165, 0x3f6eb680, v163, -v165
	v_fmac_f32_e32 v170, 0xbeb8f4ab, v56
	v_mul_f32_e32 v167, 0xbf7ba420, v164
	v_fmamk_f32 v171, v163, 0xbf7ba420, v42
	v_fma_f32 v42, 0xbf7ba420, v163, -v42
	v_add_f32_e32 v165, v165, v43
	v_add_f32_e32 v63, v170, v63
	v_fmamk_f32 v43, v56, 0x3e3c28d5, v167
	v_add_f32_e32 v170, v171, v51
	v_mul_f32_e32 v51, 0x3f2c7751, v57
	v_add_f32_e32 v169, v169, v179
	v_add_f32_e32 v61, v135, v61
	;; [unrolled: 1-line block ×3, first 2 shown]
	v_mul_f32_e32 v43, 0x3f3d2fb0, v164
	v_fmamk_f32 v135, v163, 0x3f3d2fb0, v51
	v_add_f32_e32 v160, v42, v160
	v_mul_f32_e32 v42, 0xbf763a35, v57
	v_add_f32_e32 v173, v176, v173
	v_add_f32_e32 v168, v168, v169
	v_fmamk_f32 v57, v56, 0xbf2c7751, v43
	v_add_f32_e32 v161, v135, v161
	v_fma_f32 v51, 0x3f3d2fb0, v163, -v51
	v_fmac_f32_e32 v43, 0x3f2c7751, v56
	v_fmamk_f32 v135, v163, 0xbe8c1d8e, v42
	v_mul_f32_e32 v164, 0xbe8c1d8e, v164
	v_sub_f32_e32 v171, v33, v35
	v_fma_f32 v42, 0xbe8c1d8e, v163, -v42
	v_add_f32_e32 v163, v35, v33
	v_add_f32_e32 v169, v172, v173
	;; [unrolled: 1-line block ×4, first 2 shown]
	v_fmamk_f32 v43, v56, 0x3f763a35, v164
	v_add_f32_e32 v172, v34, v32
	v_mul_f32_e32 v33, 0xbe3c28d5, v171
	v_fmac_f32_e32 v164, 0xbf763a35, v56
	v_sub_f32_e32 v173, v32, v34
	v_mul_f32_e32 v34, 0xbf7ba420, v163
	v_add_f32_e32 v175, v42, v49
	v_fmamk_f32 v32, v172, 0xbf7ba420, v33
	v_add_f32_e32 v164, v164, v39
	v_mul_f32_e32 v39, 0x3eb8f4ab, v171
	v_fmamk_f32 v35, v173, 0x3e3c28d5, v34
	v_fmac_f32_e32 v34, 0xbe3c28d5, v173
	v_add_f32_e32 v32, v32, v38
	v_fma_f32 v38, 0xbf7ba420, v172, -v33
	v_mul_f32_e32 v42, 0x3f6eb680, v163
	v_add_f32_e32 v33, v35, v46
	v_fmamk_f32 v35, v172, 0x3f6eb680, v39
	v_fmac_f32_e32 v167, 0xbe3c28d5, v56
	v_add_f32_e32 v169, v135, v169
	v_add_f32_e32 v174, v43, v136
	;; [unrolled: 1-line block ×4, first 2 shown]
	v_mul_f32_e32 v43, 0xbf06c442, v171
	v_add_f32_e32 v34, v35, v53
	v_fmamk_f32 v35, v173, 0xbeb8f4ab, v42
	v_fma_f32 v38, 0x3f6eb680, v172, -v39
	v_fmac_f32_e32 v42, 0x3eb8f4ab, v173
	v_mul_f32_e32 v46, 0xbf59a7d5, v163
	v_mul_f32_e32 v47, 0x3f2c7751, v171
	v_add_f32_e32 v158, v167, v158
	v_add_f32_e32 v167, v51, v48
	;; [unrolled: 1-line block ×4, first 2 shown]
	v_fmamk_f32 v41, v173, 0x3f06c442, v46
	v_fma_f32 v42, 0xbf59a7d5, v172, -v43
	v_fmac_f32_e32 v46, 0xbf06c442, v173
	v_mul_f32_e32 v48, 0x3f3d2fb0, v163
	v_fmamk_f32 v49, v172, 0x3f3d2fb0, v47
	v_mul_f32_e32 v51, 0xbf4c4adb, v171
	v_fmamk_f32 v40, v172, 0xbf59a7d5, v43
	v_add_f32_e32 v42, v42, v44
	v_add_f32_e32 v43, v46, v60
	v_fmamk_f32 v46, v173, 0xbf2c7751, v48
	v_add_f32_e32 v44, v49, v45
	v_fma_f32 v47, 0x3f3d2fb0, v172, -v47
	v_fmac_f32_e32 v48, 0x3f2c7751, v173
	v_fmamk_f32 v49, v172, 0xbf1a4643, v51
	v_mul_f32_e32 v52, 0xbf1a4643, v163
	v_mul_f32_e32 v53, 0x3f65296c, v171
	v_add_f32_e32 v35, v35, v55
	v_add_f32_e32 v45, v46, v58
	;; [unrolled: 1-line block ×5, first 2 shown]
	v_fmamk_f32 v49, v173, 0x3f4c4adb, v52
	v_fmac_f32_e32 v52, 0xbf4c4adb, v173
	v_fmamk_f32 v54, v172, 0x3ee437d1, v53
	v_mul_f32_e32 v55, 0x3ee437d1, v163
	v_mul_f32_e32 v56, 0xbf763a35, v171
	v_fma_f32 v50, 0xbf1a4643, v172, -v51
	v_add_f32_e32 v51, v52, v63
	v_add_f32_e32 v52, v54, v170
	v_fmamk_f32 v54, v173, 0xbf65296c, v55
	v_fma_f32 v58, 0x3ee437d1, v172, -v53
	v_mul_f32_e32 v59, 0xbe8c1d8e, v163
	v_fmamk_f32 v60, v172, 0xbe8c1d8e, v56
	v_add_f32_e32 v49, v49, v61
	v_fmac_f32_e32 v55, 0x3f65296c, v173
	v_add_f32_e32 v53, v54, v159
	v_add_f32_e32 v54, v58, v160
	v_fmamk_f32 v58, v173, 0x3f763a35, v59
	v_fma_f32 v61, 0xbe8c1d8e, v172, -v56
	v_add_f32_e32 v56, v60, v161
	v_mul_f32_e32 v60, 0x3f7ee86f, v171
	v_mul_f32_e32 v63, 0x3dbcf732, v163
	v_add_f32_e32 v41, v41, v157
	v_add_f32_e32 v55, v55, v158
	;; [unrolled: 1-line block ×4, first 2 shown]
	v_fmamk_f32 v61, v172, 0x3dbcf732, v60
	v_fmamk_f32 v157, v173, 0xbf7ee86f, v63
	v_fma_f32 v158, 0x3dbcf732, v172, -v60
	v_fmac_f32_e32 v63, 0x3f7ee86f, v173
	v_fmac_f32_e32 v59, 0xbf763a35, v173
	v_add_f32_e32 v40, v40, v166
	v_add_f32_e32 v60, v61, v169
	v_add_f32_e32 v61, v157, v174
	v_add_f32_e32 v157, v158, v175
	v_add_f32_e32 v158, v63, v164
	v_add_f32_e32 v50, v50, v165
	v_add_f32_e32 v59, v59, v168
	ds_write2_b64 v144, v[36:37], v[32:33] offset1:1
	ds_write2_b64 v144, v[34:35], v[40:41] offset0:2 offset1:3
	ds_write2_b64 v144, v[44:45], v[48:49] offset0:4 offset1:5
	;; [unrolled: 1-line block ×7, first 2 shown]
	ds_write_b64 v144, v[135:136] offset:128
	v_add_nc_u32_e32 v36, 0x1400, v141
	v_add_nc_u32_e32 v48, 0x1c00, v141
	s_waitcnt lgkmcnt(0)
	s_barrier
	buffer_gl0_inv
	ds_read2_b64 v[44:47], v141 offset1:68
	ds_read2_b64 v[56:59], v62 offset0:66 offset1:134
	ds_read2_b64 v[32:35], v141 offset0:136 offset1:204
	;; [unrolled: 1-line block ×7, first 2 shown]
	s_and_saveexec_b32 s0, vcc_lo
	s_cbranch_execz .LBB0_11
; %bb.10:
	ds_read_b64 v[135:136], v141 offset:4352
	ds_read_b64 v[137:138], v141 offset:8976
.LBB0_11:
	s_or_b32 exec_lo, exec_lo, s0
	s_waitcnt lgkmcnt(6)
	v_mul_f32_e32 v139, v100, v57
	v_mul_f32_e32 v100, v100, v56
	;; [unrolled: 1-line block ×4, first 2 shown]
	s_waitcnt lgkmcnt(0)
	v_fmac_f32_e32 v139, v99, v56
	v_fma_f32 v56, v99, v57, -v100
	v_mul_f32_e32 v57, v114, v61
	v_mul_f32_e32 v99, v112, v63
	v_fmac_f32_e32 v140, v115, v58
	v_fma_f32 v58, v115, v59, -v116
	v_mul_f32_e32 v59, v114, v60
	v_mul_f32_e32 v100, v112, v62
	v_fmac_f32_e32 v57, v113, v60
	v_mul_f32_e32 v60, v110, v53
	v_fmac_f32_e32 v99, v111, v62
	v_mul_f32_e32 v62, v110, v52
	v_fma_f32 v59, v113, v61, -v59
	v_fma_f32 v61, v111, v63, -v100
	v_fmac_f32_e32 v60, v109, v52
	v_mul_f32_e32 v63, v108, v55
	v_mul_f32_e32 v52, v108, v54
	;; [unrolled: 1-line block ×3, first 2 shown]
	v_fma_f32 v62, v109, v53, -v62
	v_mul_f32_e32 v53, v106, v48
	v_fmac_f32_e32 v63, v107, v54
	v_fma_f32 v106, v107, v55, -v52
	v_fmac_f32_e32 v100, v105, v48
	v_mul_f32_e32 v107, v102, v51
	v_fma_f32 v105, v105, v49, -v53
	v_mul_f32_e32 v49, v102, v50
	v_mul_f32_e32 v102, v104, v138
	;; [unrolled: 1-line block ×3, first 2 shown]
	v_fmac_f32_e32 v107, v101, v50
	v_sub_f32_e32 v48, v44, v139
	v_fma_f32 v101, v101, v51, -v49
	v_fmac_f32_e32 v102, v103, v137
	v_fma_f32 v103, v103, v138, -v52
	v_sub_f32_e32 v49, v45, v56
	v_sub_f32_e32 v52, v32, v57
	;; [unrolled: 1-line block ×9, first 2 shown]
	v_fma_f32 v44, v44, 2.0, -v48
	v_fma_f32 v45, v45, 2.0, -v49
	;; [unrolled: 1-line block ×4, first 2 shown]
	v_sub_f32_e32 v60, v42, v63
	v_sub_f32_e32 v61, v43, v106
	;; [unrolled: 1-line block ×8, first 2 shown]
	v_fma_f32 v46, v46, 2.0, -v50
	v_fma_f32 v47, v47, 2.0, -v51
	;; [unrolled: 1-line block ×12, first 2 shown]
	s_barrier
	buffer_gl0_inv
	ds_write2_b64 v154, v[44:45], v[48:49] offset1:17
	ds_write2_b64 v153, v[46:47], v[50:51] offset1:17
	;; [unrolled: 1-line block ×8, first 2 shown]
	s_and_saveexec_b32 s0, vcc_lo
	s_cbranch_execz .LBB0_13
; %bb.12:
	v_mad_u16 v34, v145, 34, v146
	v_fma_f32 v35, v136, 2.0, -v33
	v_and_b32_e32 v36, 0xffff, v34
	v_fma_f32 v34, v135, 2.0, -v32
	v_lshl_add_u32 v36, v36, 3, v143
	ds_write2_b64 v36, v[34:35], v[32:33] offset1:17
.LBB0_13:
	s_or_b32 exec_lo, exec_lo, s0
	v_add_nc_u32_e32 v36, 0x800, v141
	s_waitcnt lgkmcnt(0)
	s_barrier
	buffer_gl0_inv
	ds_read2_b64 v[39:42], v141 offset1:68
	ds_read2_b64 v[43:46], v141 offset0:136 offset1:204
	ds_read2_b64 v[47:50], v36 offset0:16 offset1:84
	v_add_nc_u32_e32 v38, 0x1000, v141
	v_add_nc_u32_e32 v37, 0x1800, v141
	ds_read_b64 v[34:35], v141 offset:8704
	ds_read2_b64 v[51:54], v36 offset0:152 offset1:220
	ds_read2_b64 v[55:58], v38 offset0:32 offset1:100
	;; [unrolled: 1-line block ×5, first 2 shown]
	s_waitcnt lgkmcnt(0)
	s_barrier
	buffer_gl0_inv
	v_mul_f32_e32 v63, v29, v42
	v_mul_f32_e32 v29, v29, v41
	;; [unrolled: 1-line block ×6, first 2 shown]
	v_fmac_f32_e32 v63, v28, v41
	v_fma_f32 v29, v28, v42, -v29
	v_mul_f32_e32 v28, v27, v48
	v_mul_f32_e32 v27, v27, v47
	v_fmac_f32_e32 v107, v30, v43
	v_fma_f32 v30, v30, v44, -v31
	v_fmac_f32_e32 v108, v24, v45
	v_fma_f32 v31, v24, v46, -v25
	v_fmac_f32_e32 v28, v26, v47
	v_mul_f32_e32 v24, v23, v52
	v_fma_f32 v26, v26, v48, -v27
	v_mul_f32_e32 v27, v23, v51
	v_mul_f32_e32 v25, v21, v50
	v_mul_f32_e32 v21, v21, v49
	v_fmac_f32_e32 v24, v22, v51
	v_add_f32_e32 v41, v40, v29
	v_fma_f32 v22, v22, v52, -v27
	v_add_f32_e32 v27, v39, v63
	v_fmac_f32_e32 v25, v20, v49
	v_fma_f32 v23, v20, v50, -v21
	v_mul_f32_e32 v20, v5, v54
	v_mul_f32_e32 v5, v5, v53
	v_add_f32_e32 v27, v27, v107
	v_add_f32_e32 v41, v41, v30
	v_mul_f32_e32 v42, v9, v101
	v_fmac_f32_e32 v20, v4, v53
	v_fma_f32 v21, v4, v54, -v5
	v_add_f32_e32 v27, v27, v108
	v_mul_f32_e32 v4, v7, v56
	v_mul_f32_e32 v7, v7, v55
	v_add_f32_e32 v41, v41, v31
	v_mul_f32_e32 v5, v17, v58
	v_add_f32_e32 v27, v27, v28
	v_fmac_f32_e32 v4, v6, v55
	v_fma_f32 v6, v6, v56, -v7
	v_mul_f32_e32 v7, v17, v57
	v_add_f32_e32 v41, v41, v26
	v_mul_f32_e32 v17, v19, v60
	v_mul_f32_e32 v19, v19, v59
	v_add_f32_e32 v27, v27, v25
	v_fmac_f32_e32 v5, v16, v57
	v_fma_f32 v7, v16, v58, -v7
	v_add_f32_e32 v41, v41, v23
	v_fma_f32 v16, v18, v60, -v19
	v_add_f32_e32 v19, v27, v24
	v_fmac_f32_e32 v17, v18, v59
	v_mul_f32_e32 v18, v13, v62
	v_add_f32_e32 v27, v41, v22
	v_mul_f32_e32 v41, v13, v61
	v_add_f32_e32 v19, v19, v20
	v_mul_f32_e32 v13, v15, v100
	v_mul_f32_e32 v15, v15, v99
	v_add_f32_e32 v27, v27, v21
	v_fmac_f32_e32 v18, v12, v61
	v_add_f32_e32 v19, v19, v4
	v_fma_f32 v12, v12, v62, -v41
	v_fmac_f32_e32 v13, v14, v99
	v_add_f32_e32 v27, v27, v6
	v_mul_f32_e32 v41, v9, v102
	v_fma_f32 v9, v14, v100, -v15
	v_add_f32_e32 v14, v19, v5
	v_mul_f32_e32 v19, v11, v104
	v_add_f32_e32 v15, v27, v7
	v_fmac_f32_e32 v41, v8, v101
	v_mul_f32_e32 v11, v11, v103
	v_add_f32_e32 v14, v14, v17
	v_fma_f32 v8, v8, v102, -v42
	v_add_f32_e32 v15, v15, v16
	v_mul_f32_e32 v27, v1, v106
	v_fmac_f32_e32 v19, v10, v103
	v_add_f32_e32 v14, v14, v18
	v_fma_f32 v10, v10, v104, -v11
	v_add_f32_e32 v15, v15, v12
	v_mul_f32_e32 v11, v3, v34
	v_mul_f32_e32 v3, v3, v35
	v_add_f32_e32 v14, v14, v13
	v_mul_f32_e32 v1, v1, v105
	v_add_f32_e32 v15, v15, v9
	v_fmac_f32_e32 v27, v0, v105
	v_fma_f32 v11, v2, v35, -v11
	v_add_f32_e32 v14, v14, v41
	v_fmac_f32_e32 v3, v2, v34
	v_add_f32_e32 v15, v15, v8
	v_fma_f32 v2, v0, v106, -v1
	v_sub_f32_e32 v34, v29, v11
	v_add_f32_e32 v0, v14, v19
	v_add_f32_e32 v14, v63, v3
	;; [unrolled: 1-line block ×4, first 2 shown]
	v_mul_f32_e32 v29, 0xbeb8f4ab, v34
	v_add_f32_e32 v0, v0, v27
	v_sub_f32_e32 v35, v63, v3
	v_add_f32_e32 v1, v1, v2
	v_mul_f32_e32 v42, 0x3f6eb680, v15
	v_mul_f32_e32 v45, 0x3f3d2fb0, v15
	v_add_f32_e32 v0, v0, v3
	v_mul_f32_e32 v3, 0xbf2c7751, v34
	v_mul_f32_e32 v46, 0xbf65296c, v34
	;; [unrolled: 1-line block ×13, first 2 shown]
	v_sub_f32_e32 v103, v30, v2
	v_add_f32_e32 v2, v30, v2
	v_fmamk_f32 v43, v14, 0x3f6eb680, v29
	v_add_f32_e32 v1, v1, v11
	v_fmamk_f32 v11, v35, 0x3eb8f4ab, v42
	v_fma_f32 v29, 0x3f6eb680, v14, -v29
	v_fmac_f32_e32 v42, 0xbeb8f4ab, v35
	v_fmamk_f32 v44, v14, 0x3f3d2fb0, v3
	v_fmamk_f32 v47, v35, 0x3f2c7751, v45
	v_fma_f32 v3, 0x3f3d2fb0, v14, -v3
	v_fmac_f32_e32 v45, 0xbf2c7751, v35
	v_fmamk_f32 v49, v14, 0x3ee437d1, v46
	;; [unrolled: 4-line block ×7, first 2 shown]
	v_fmamk_f32 v104, v35, 0x3e3c28d5, v15
	v_fma_f32 v14, 0xbf7ba420, v14, -v34
	v_add_f32_e32 v30, v107, v27
	v_mul_f32_e32 v34, 0xbf2c7751, v103
	v_fmac_f32_e32 v15, 0xbe3c28d5, v35
	v_sub_f32_e32 v27, v107, v27
	v_mul_f32_e32 v35, 0x3f3d2fb0, v2
	v_add_f32_e32 v43, v39, v43
	v_add_f32_e32 v11, v40, v11
	;; [unrolled: 1-line block ×30, first 2 shown]
	v_fmamk_f32 v105, v30, 0x3f3d2fb0, v34
	v_add_f32_e32 v14, v39, v14
	v_add_f32_e32 v15, v40, v15
	v_fmamk_f32 v39, v27, 0x3f2c7751, v35
	v_mul_f32_e32 v40, 0xbf7ee86f, v103
	v_fma_f32 v34, 0x3f3d2fb0, v30, -v34
	v_fmac_f32_e32 v35, 0xbf2c7751, v27
	v_add_f32_e32 v43, v105, v43
	v_add_f32_e32 v11, v39, v11
	v_fmamk_f32 v39, v30, 0x3dbcf732, v40
	v_mul_f32_e32 v105, 0x3dbcf732, v2
	v_add_f32_e32 v29, v34, v29
	v_add_f32_e32 v34, v35, v42
	v_mul_f32_e32 v35, 0xbf4c4adb, v103
	v_add_f32_e32 v39, v39, v44
	v_fmamk_f32 v42, v27, 0x3f7ee86f, v105
	v_fma_f32 v40, 0x3dbcf732, v30, -v40
	v_fmac_f32_e32 v105, 0xbf7ee86f, v27
	v_fmamk_f32 v44, v30, 0xbf1a4643, v35
	v_mul_f32_e32 v106, 0xbf1a4643, v2
	v_add_f32_e32 v42, v42, v47
	v_add_f32_e32 v3, v40, v3
	;; [unrolled: 1-line block ×4, first 2 shown]
	v_fmamk_f32 v45, v27, 0x3f4c4adb, v106
	v_mul_f32_e32 v47, 0xbe3c28d5, v103
	v_fma_f32 v35, 0xbf1a4643, v30, -v35
	v_fmac_f32_e32 v106, 0xbf4c4adb, v27
	v_mul_f32_e32 v49, 0xbf7ba420, v2
	v_add_f32_e32 v45, v45, v50
	v_fmamk_f32 v50, v30, 0xbf7ba420, v47
	v_add_f32_e32 v35, v35, v46
	v_add_f32_e32 v46, v106, v48
	v_fmamk_f32 v48, v27, 0x3e3c28d5, v49
	v_mul_f32_e32 v105, 0x3f06c442, v103
	v_add_f32_e32 v50, v50, v53
	v_fma_f32 v47, 0xbf7ba420, v30, -v47
	v_fmac_f32_e32 v49, 0xbe3c28d5, v27
	v_add_f32_e32 v48, v48, v55
	v_fmamk_f32 v53, v30, 0xbf59a7d5, v105
	v_mul_f32_e32 v55, 0xbf59a7d5, v2
	v_add_f32_e32 v47, v47, v51
	v_add_f32_e32 v49, v49, v52
	v_mul_f32_e32 v51, 0x3f763a35, v103
	v_add_f32_e32 v52, v53, v56
	v_fmamk_f32 v53, v27, 0xbf06c442, v55
	v_fmac_f32_e32 v55, 0x3f06c442, v27
	v_mul_f32_e32 v106, 0xbe8c1d8e, v2
	v_fma_f32 v56, 0xbf59a7d5, v30, -v105
	v_fmamk_f32 v105, v30, 0xbe8c1d8e, v51
	v_add_f32_e32 v53, v53, v59
	v_add_f32_e32 v55, v55, v57
	v_fmamk_f32 v57, v27, 0xbf763a35, v106
	v_mul_f32_e32 v59, 0x3f65296c, v103
	v_add_f32_e32 v54, v56, v54
	v_add_f32_e32 v56, v105, v61
	v_fma_f32 v51, 0xbe8c1d8e, v30, -v51
	v_mul_f32_e32 v61, 0x3ee437d1, v2
	v_add_f32_e32 v57, v57, v62
	v_fmamk_f32 v62, v30, 0x3ee437d1, v59
	v_mul_f32_e32 v103, 0x3eb8f4ab, v103
	v_fma_f32 v59, 0x3ee437d1, v30, -v59
	v_add_f32_e32 v51, v51, v58
	v_fmamk_f32 v58, v27, 0xbf65296c, v61
	v_add_f32_e32 v62, v62, v100
	v_fmac_f32_e32 v61, 0x3f65296c, v27
	v_fmamk_f32 v100, v30, 0x3f6eb680, v103
	v_add_f32_e32 v59, v59, v63
	v_sub_f32_e32 v63, v31, v10
	v_add_f32_e32 v58, v58, v101
	v_mul_f32_e32 v2, 0x3f6eb680, v2
	v_add_f32_e32 v61, v61, v99
	v_add_f32_e32 v99, v100, v102
	;; [unrolled: 1-line block ×3, first 2 shown]
	v_mul_f32_e32 v102, 0xbf65296c, v63
	v_add_f32_e32 v10, v31, v10
	v_fmac_f32_e32 v106, 0x3f763a35, v27
	v_fmamk_f32 v100, v27, 0xbeb8f4ab, v2
	v_fma_f32 v30, 0x3f6eb680, v30, -v103
	v_fmac_f32_e32 v2, 0x3eb8f4ab, v27
	v_sub_f32_e32 v19, v108, v19
	v_fmamk_f32 v27, v101, 0x3ee437d1, v102
	v_mul_f32_e32 v31, 0x3ee437d1, v10
	v_add_f32_e32 v14, v30, v14
	v_add_f32_e32 v2, v2, v15
	v_mul_f32_e32 v30, 0xbf4c4adb, v63
	v_add_f32_e32 v15, v27, v43
	v_fmamk_f32 v27, v19, 0x3f65296c, v31
	v_fma_f32 v43, 0x3ee437d1, v101, -v102
	v_fmac_f32_e32 v31, 0xbf65296c, v19
	v_mul_f32_e32 v102, 0xbf1a4643, v10
	v_mul_f32_e32 v103, 0xbe8c1d8e, v10
	v_add_f32_e32 v11, v27, v11
	v_fmamk_f32 v27, v101, 0xbf1a4643, v30
	v_add_f32_e32 v29, v43, v29
	v_add_f32_e32 v31, v31, v34
	v_fmamk_f32 v34, v19, 0x3f4c4adb, v102
	v_mul_f32_e32 v43, 0x3e3c28d5, v63
	v_fma_f32 v30, 0xbf1a4643, v101, -v30
	v_fmac_f32_e32 v102, 0xbf4c4adb, v19
	v_add_f32_e32 v27, v27, v39
	v_add_f32_e32 v34, v34, v42
	v_fmamk_f32 v39, v101, 0xbf7ba420, v43
	v_mul_f32_e32 v42, 0xbf7ba420, v10
	v_add_f32_e32 v3, v30, v3
	v_add_f32_e32 v30, v102, v40
	v_mul_f32_e32 v40, 0x3f763a35, v63
	v_add_f32_e32 v39, v39, v44
	v_fmamk_f32 v44, v19, 0xbe3c28d5, v42
	v_fma_f32 v43, 0xbf7ba420, v101, -v43
	v_fmac_f32_e32 v42, 0x3e3c28d5, v19
	v_fmamk_f32 v102, v101, 0xbe8c1d8e, v40
	v_fma_f32 v40, 0xbe8c1d8e, v101, -v40
	v_add_f32_e32 v44, v44, v45
	v_add_f32_e32 v35, v43, v35
	v_fmamk_f32 v45, v19, 0xbf763a35, v103
	v_add_f32_e32 v43, v102, v50
	v_fmac_f32_e32 v103, 0x3f763a35, v19
	v_mul_f32_e32 v50, 0x3f3d2fb0, v10
	v_add_f32_e32 v42, v42, v46
	v_mul_f32_e32 v46, 0x3f2c7751, v63
	v_add_f32_e32 v40, v40, v47
	v_add_f32_e32 v47, v103, v49
	v_fmamk_f32 v49, v19, 0xbf2c7751, v50
	v_add_f32_e32 v45, v45, v48
	v_fmamk_f32 v48, v101, 0x3f3d2fb0, v46
	v_mul_f32_e32 v102, 0xbeb8f4ab, v63
	v_fma_f32 v46, 0x3f3d2fb0, v101, -v46
	v_fmac_f32_e32 v50, 0x3f2c7751, v19
	v_add_f32_e32 v49, v49, v53
	v_mul_f32_e32 v53, 0x3f6eb680, v10
	v_add_f32_e32 v48, v48, v52
	v_fmamk_f32 v52, v101, 0x3f6eb680, v102
	v_add_f32_e32 v46, v46, v54
	v_add_f32_e32 v50, v50, v55
	v_mul_f32_e32 v54, 0xbf7ee86f, v63
	v_fmamk_f32 v55, v19, 0x3eb8f4ab, v53
	v_mul_f32_e32 v103, 0x3dbcf732, v10
	v_add_f32_e32 v60, v106, v60
	v_add_f32_e32 v52, v52, v56
	v_fma_f32 v56, 0x3f6eb680, v101, -v102
	v_fmac_f32_e32 v53, 0xbeb8f4ab, v19
	v_fmamk_f32 v102, v101, 0x3dbcf732, v54
	v_add_f32_e32 v55, v55, v57
	v_fmamk_f32 v57, v19, 0x3f7ee86f, v103
	v_fma_f32 v54, 0x3dbcf732, v101, -v54
	v_fmac_f32_e32 v103, 0xbf7ee86f, v19
	v_add_f32_e32 v53, v53, v60
	v_mul_f32_e32 v60, 0xbf06c442, v63
	v_mul_f32_e32 v10, 0xbf59a7d5, v10
	v_add_f32_e32 v54, v54, v59
	v_add_f32_e32 v59, v103, v61
	v_sub_f32_e32 v61, v26, v8
	v_add_f32_e32 v8, v26, v8
	v_add_f32_e32 v51, v56, v51
	;; [unrolled: 1-line block ×4, first 2 shown]
	v_fmamk_f32 v58, v101, 0xbf59a7d5, v60
	v_fmamk_f32 v62, v19, 0x3f06c442, v10
	v_add_f32_e32 v63, v28, v41
	v_mul_f32_e32 v26, 0xbf7ee86f, v61
	v_fma_f32 v60, 0xbf59a7d5, v101, -v60
	v_fmac_f32_e32 v10, 0xbf06c442, v19
	v_sub_f32_e32 v19, v28, v41
	v_mul_f32_e32 v28, 0x3dbcf732, v8
	v_fmamk_f32 v41, v63, 0x3dbcf732, v26
	v_add_f32_e32 v14, v60, v14
	v_add_f32_e32 v2, v10, v2
	v_mul_f32_e32 v10, 0xbe3c28d5, v61
	v_fmamk_f32 v60, v19, 0x3f7ee86f, v28
	v_add_f32_e32 v15, v41, v15
	v_fma_f32 v26, 0x3dbcf732, v63, -v26
	v_fmac_f32_e32 v28, 0xbf7ee86f, v19
	v_fmamk_f32 v41, v63, 0xbf7ba420, v10
	v_add_f32_e32 v11, v60, v11
	v_mul_f32_e32 v60, 0xbf7ba420, v8
	v_add_f32_e32 v26, v26, v29
	v_add_f32_e32 v28, v28, v31
	;; [unrolled: 1-line block ×3, first 2 shown]
	v_mul_f32_e32 v29, 0x3f763a35, v61
	v_fmamk_f32 v31, v19, 0x3e3c28d5, v60
	v_fma_f32 v10, 0xbf7ba420, v63, -v10
	v_fmac_f32_e32 v60, 0xbe3c28d5, v19
	v_mul_f32_e32 v41, 0xbe8c1d8e, v8
	v_add_f32_e32 v58, v58, v99
	v_fmamk_f32 v99, v63, 0xbe8c1d8e, v29
	v_add_f32_e32 v3, v10, v3
	v_add_f32_e32 v10, v60, v30
	v_fmamk_f32 v30, v19, 0xbf763a35, v41
	v_add_f32_e32 v31, v31, v34
	v_add_f32_e32 v34, v99, v39
	v_mul_f32_e32 v39, 0x3eb8f4ab, v61
	v_fma_f32 v29, 0xbe8c1d8e, v63, -v29
	v_fmac_f32_e32 v41, 0x3f763a35, v19
	v_add_f32_e32 v30, v30, v44
	v_mul_f32_e32 v44, 0x3f6eb680, v8
	v_fmamk_f32 v60, v63, 0x3f6eb680, v39
	v_add_f32_e32 v29, v29, v35
	v_add_f32_e32 v35, v41, v42
	v_mul_f32_e32 v41, 0xbf65296c, v61
	v_fmamk_f32 v42, v19, 0xbeb8f4ab, v44
	v_add_f32_e32 v43, v60, v43
	v_fma_f32 v39, 0x3f6eb680, v63, -v39
	v_fmac_f32_e32 v44, 0x3eb8f4ab, v19
	v_fmamk_f32 v60, v63, 0x3ee437d1, v41
	v_add_f32_e32 v42, v42, v45
	v_mul_f32_e32 v45, 0x3ee437d1, v8
	v_add_f32_e32 v39, v39, v40
	v_add_f32_e32 v40, v44, v47
	v_add_f32_e32 v44, v60, v48
	v_mul_f32_e32 v47, 0xbf06c442, v61
	v_fmamk_f32 v48, v19, 0x3f65296c, v45
	v_fma_f32 v41, 0x3ee437d1, v63, -v41
	v_fmac_f32_e32 v45, 0xbf65296c, v19
	v_mul_f32_e32 v60, 0xbf59a7d5, v8
	v_fmamk_f32 v99, v63, 0xbf59a7d5, v47
	v_fma_f32 v47, 0xbf59a7d5, v63, -v47
	v_add_f32_e32 v41, v41, v46
	v_add_f32_e32 v45, v45, v50
	v_fmamk_f32 v46, v19, 0x3f06c442, v60
	v_mul_f32_e32 v50, 0x3f4c4adb, v61
	v_fmac_f32_e32 v60, 0xbf06c442, v19
	v_add_f32_e32 v47, v47, v51
	v_add_f32_e32 v48, v48, v49
	;; [unrolled: 1-line block ×3, first 2 shown]
	v_fmamk_f32 v55, v63, 0xbf1a4643, v50
	v_add_f32_e32 v51, v60, v53
	v_mul_f32_e32 v53, 0x3f2c7751, v61
	v_add_f32_e32 v49, v99, v52
	v_mul_f32_e32 v52, 0xbf1a4643, v8
	v_add_f32_e32 v55, v55, v56
	v_fma_f32 v50, 0xbf1a4643, v63, -v50
	v_fmamk_f32 v56, v63, 0x3f3d2fb0, v53
	v_add_f32_e32 v100, v100, v104
	v_fmamk_f32 v60, v19, 0xbf4c4adb, v52
	v_fmac_f32_e32 v52, 0x3f4c4adb, v19
	v_mul_f32_e32 v8, 0x3f3d2fb0, v8
	v_add_f32_e32 v50, v50, v54
	v_add_f32_e32 v54, v56, v58
	v_sub_f32_e32 v56, v23, v9
	v_add_f32_e32 v9, v23, v9
	v_add_f32_e32 v62, v62, v100
	;; [unrolled: 1-line block ×3, first 2 shown]
	v_fmamk_f32 v58, v19, 0xbf2c7751, v8
	v_fma_f32 v53, 0x3f3d2fb0, v63, -v53
	v_add_f32_e32 v23, v25, v13
	v_mul_f32_e32 v59, 0xbf763a35, v56
	v_fmac_f32_e32 v8, 0x3f2c7751, v19
	v_sub_f32_e32 v13, v25, v13
	v_mul_f32_e32 v19, 0xbe8c1d8e, v9
	v_add_f32_e32 v25, v58, v62
	v_fmamk_f32 v58, v23, 0xbe8c1d8e, v59
	v_add_f32_e32 v14, v53, v14
	v_add_f32_e32 v2, v8, v2
	v_fmamk_f32 v8, v13, 0x3f763a35, v19
	v_mul_f32_e32 v53, 0x3f06c442, v56
	v_fmac_f32_e32 v19, 0xbf763a35, v13
	v_add_f32_e32 v15, v58, v15
	v_fma_f32 v58, 0xbe8c1d8e, v23, -v59
	v_add_f32_e32 v8, v8, v11
	v_fmamk_f32 v11, v23, 0xbf59a7d5, v53
	v_mul_f32_e32 v59, 0xbf59a7d5, v9
	v_add_f32_e32 v19, v19, v28
	v_mul_f32_e32 v28, 0x3f2c7751, v56
	v_add_f32_e32 v57, v60, v57
	v_add_f32_e32 v26, v58, v26
	;; [unrolled: 1-line block ×3, first 2 shown]
	v_fmamk_f32 v27, v13, 0xbf06c442, v59
	v_fma_f32 v53, 0xbf59a7d5, v23, -v53
	v_fmamk_f32 v58, v23, 0x3f3d2fb0, v28
	v_mul_f32_e32 v60, 0x3f3d2fb0, v9
	v_fmac_f32_e32 v59, 0x3f06c442, v13
	v_add_f32_e32 v27, v27, v31
	v_add_f32_e32 v3, v53, v3
	;; [unrolled: 1-line block ×3, first 2 shown]
	v_fmamk_f32 v34, v13, 0xbf2c7751, v60
	v_mul_f32_e32 v53, 0xbf65296c, v56
	v_fma_f32 v28, 0x3f3d2fb0, v23, -v28
	v_fmac_f32_e32 v60, 0x3f2c7751, v13
	v_mul_f32_e32 v58, 0x3ee437d1, v9
	v_add_f32_e32 v30, v34, v30
	v_fmamk_f32 v34, v23, 0x3ee437d1, v53
	v_add_f32_e32 v10, v59, v10
	v_add_f32_e32 v28, v28, v29
	;; [unrolled: 1-line block ×3, first 2 shown]
	v_fmamk_f32 v35, v13, 0x3f65296c, v58
	v_mul_f32_e32 v59, 0xbe3c28d5, v56
	v_add_f32_e32 v34, v34, v43
	v_fma_f32 v43, 0x3ee437d1, v23, -v53
	v_fmac_f32_e32 v58, 0xbf65296c, v13
	v_add_f32_e32 v35, v35, v42
	v_fmamk_f32 v42, v23, 0xbf7ba420, v59
	v_mul_f32_e32 v53, 0xbf7ba420, v9
	v_add_f32_e32 v39, v43, v39
	v_mul_f32_e32 v43, 0x3f7ee86f, v56
	v_add_f32_e32 v40, v58, v40
	v_add_f32_e32 v42, v42, v44
	v_fmamk_f32 v44, v13, 0x3e3c28d5, v53
	v_fma_f32 v58, 0xbf7ba420, v23, -v59
	v_fmac_f32_e32 v53, 0xbe3c28d5, v13
	v_fmamk_f32 v59, v23, 0x3dbcf732, v43
	v_mul_f32_e32 v60, 0x3dbcf732, v9
	v_add_f32_e32 v44, v44, v48
	v_add_f32_e32 v41, v58, v41
	;; [unrolled: 1-line block ×4, first 2 shown]
	v_fmamk_f32 v49, v13, 0xbf7ee86f, v60
	v_mul_f32_e32 v53, 0xbeb8f4ab, v56
	v_fma_f32 v43, 0x3dbcf732, v23, -v43
	v_mul_f32_e32 v58, 0x3f6eb680, v9
	v_mul_f32_e32 v56, 0xbf4c4adb, v56
	v_add_f32_e32 v46, v49, v46
	v_fmamk_f32 v49, v23, 0x3f6eb680, v53
	v_fma_f32 v53, 0x3f6eb680, v23, -v53
	v_add_f32_e32 v43, v43, v47
	v_fmamk_f32 v47, v13, 0x3eb8f4ab, v58
	v_fmac_f32_e32 v58, 0xbeb8f4ab, v13
	v_add_f32_e32 v49, v49, v55
	v_add_f32_e32 v50, v53, v50
	v_sub_f32_e32 v53, v22, v12
	v_add_f32_e32 v47, v47, v57
	v_fmamk_f32 v55, v23, 0xbf1a4643, v56
	v_mul_f32_e32 v9, 0xbf1a4643, v9
	v_add_f32_e32 v52, v58, v52
	v_add_f32_e32 v57, v24, v18
	v_mul_f32_e32 v58, 0xbf4c4adb, v53
	v_add_f32_e32 v12, v22, v12
	v_fmac_f32_e32 v60, 0x3f7ee86f, v13
	v_add_f32_e32 v54, v55, v54
	v_fmamk_f32 v55, v13, 0x3f4c4adb, v9
	v_fma_f32 v22, 0xbf1a4643, v23, -v56
	v_fmac_f32_e32 v9, 0xbf4c4adb, v13
	v_sub_f32_e32 v13, v24, v18
	v_fmamk_f32 v18, v57, 0xbf1a4643, v58
	v_mul_f32_e32 v23, 0xbf1a4643, v12
	v_add_f32_e32 v24, v55, v25
	v_add_f32_e32 v2, v9, v2
	;; [unrolled: 1-line block ×4, first 2 shown]
	v_fmamk_f32 v15, v13, 0x3f4c4adb, v23
	v_mul_f32_e32 v18, 0x3f763a35, v53
	v_fma_f32 v22, 0xbf1a4643, v57, -v58
	v_fmac_f32_e32 v23, 0xbf4c4adb, v13
	v_mul_f32_e32 v25, 0xbe8c1d8e, v12
	v_add_f32_e32 v8, v15, v8
	v_fmamk_f32 v15, v57, 0xbe8c1d8e, v18
	v_add_f32_e32 v22, v22, v26
	v_add_f32_e32 v19, v23, v19
	v_fmamk_f32 v23, v13, 0xbf763a35, v25
	v_mul_f32_e32 v26, 0xbeb8f4ab, v53
	v_add_f32_e32 v11, v15, v11
	v_fma_f32 v15, 0xbe8c1d8e, v57, -v18
	v_fmac_f32_e32 v25, 0x3f763a35, v13
	v_add_f32_e32 v18, v23, v27
	v_fmamk_f32 v23, v57, 0x3f6eb680, v26
	v_mul_f32_e32 v27, 0x3f6eb680, v12
	v_add_f32_e32 v3, v15, v3
	v_mul_f32_e32 v15, 0xbf06c442, v53
	v_add_f32_e32 v10, v25, v10
	v_add_f32_e32 v23, v23, v31
	v_fmamk_f32 v25, v13, 0x3eb8f4ab, v27
	v_fma_f32 v26, 0x3f6eb680, v57, -v26
	v_fmac_f32_e32 v27, 0xbeb8f4ab, v13
	v_fmamk_f32 v31, v57, 0xbf59a7d5, v15
	v_mul_f32_e32 v55, 0xbf59a7d5, v12
	v_add_f32_e32 v25, v25, v30
	v_add_f32_e32 v26, v26, v28
	v_add_f32_e32 v27, v27, v29
	v_add_f32_e32 v28, v31, v34
	v_fmamk_f32 v29, v13, 0x3f06c442, v55
	v_mul_f32_e32 v30, 0x3f7ee86f, v53
	v_fma_f32 v15, 0xbf59a7d5, v57, -v15
	v_fmac_f32_e32 v55, 0xbf06c442, v13
	v_mul_f32_e32 v31, 0x3dbcf732, v12
	v_add_f32_e32 v29, v29, v35
	v_fmamk_f32 v34, v57, 0x3dbcf732, v30
	v_add_f32_e32 v15, v15, v39
	v_add_f32_e32 v35, v55, v40
	v_fmamk_f32 v39, v13, 0xbf7ee86f, v31
	v_mul_f32_e32 v40, 0xbf2c7751, v53
	v_fma_f32 v30, 0x3dbcf732, v57, -v30
	v_add_f32_e32 v34, v34, v42
	v_fmac_f32_e32 v31, 0x3f7ee86f, v13
	v_add_f32_e32 v39, v39, v44
	v_fmamk_f32 v42, v57, 0x3f3d2fb0, v40
	v_mul_f32_e32 v44, 0x3f3d2fb0, v12
	v_add_f32_e32 v30, v30, v41
	v_mul_f32_e32 v41, 0xbe3c28d5, v53
	v_add_f32_e32 v51, v60, v51
	v_add_f32_e32 v31, v31, v45
	;; [unrolled: 1-line block ×3, first 2 shown]
	v_fmamk_f32 v45, v13, 0x3f2c7751, v44
	v_fma_f32 v40, 0x3f3d2fb0, v57, -v40
	v_fmac_f32_e32 v44, 0xbf2c7751, v13
	v_fmamk_f32 v48, v57, 0xbf7ba420, v41
	v_mul_f32_e32 v55, 0xbf7ba420, v12
	v_mul_f32_e32 v12, 0x3ee437d1, v12
	v_add_f32_e32 v40, v40, v43
	v_add_f32_e32 v43, v44, v51
	;; [unrolled: 1-line block ×3, first 2 shown]
	v_sub_f32_e32 v51, v21, v16
	v_fmamk_f32 v49, v13, 0xbf65296c, v12
	v_add_f32_e32 v45, v45, v46
	v_fmamk_f32 v46, v13, 0x3e3c28d5, v55
	v_mul_f32_e32 v48, 0x3f65296c, v53
	v_add_f32_e32 v16, v21, v16
	v_add_f32_e32 v24, v49, v24
	;; [unrolled: 1-line block ×3, first 2 shown]
	v_mul_f32_e32 v21, 0xbf06c442, v51
	v_fmac_f32_e32 v55, 0xbe3c28d5, v13
	v_add_f32_e32 v46, v46, v47
	v_fmamk_f32 v47, v57, 0x3ee437d1, v48
	v_fma_f32 v48, 0x3ee437d1, v57, -v48
	v_fmac_f32_e32 v12, 0x3f65296c, v13
	v_sub_f32_e32 v13, v20, v17
	v_mul_f32_e32 v17, 0xbf59a7d5, v16
	v_fmamk_f32 v20, v49, 0xbf59a7d5, v21
	v_add_f32_e32 v14, v48, v14
	v_add_f32_e32 v2, v12, v2
	v_mul_f32_e32 v12, 0x3f65296c, v51
	v_fmamk_f32 v48, v13, 0x3f06c442, v17
	v_add_f32_e32 v9, v20, v9
	v_fma_f32 v20, 0xbf59a7d5, v49, -v21
	v_fmac_f32_e32 v17, 0xbf06c442, v13
	v_fma_f32 v41, 0xbf7ba420, v57, -v41
	v_fmamk_f32 v21, v49, 0x3ee437d1, v12
	v_add_f32_e32 v8, v48, v8
	v_mul_f32_e32 v48, 0x3ee437d1, v16
	v_add_f32_e32 v20, v20, v22
	v_add_f32_e32 v17, v17, v19
	v_mul_f32_e32 v19, 0xbf7ee86f, v51
	v_fma_f32 v12, 0x3ee437d1, v49, -v12
	v_mul_f32_e32 v22, 0x3dbcf732, v16
	v_add_f32_e32 v41, v41, v50
	v_add_f32_e32 v50, v55, v52
	;; [unrolled: 1-line block ×3, first 2 shown]
	v_fmamk_f32 v21, v13, 0xbf65296c, v48
	v_fmamk_f32 v52, v49, 0x3dbcf732, v19
	v_add_f32_e32 v12, v12, v3
	v_fmamk_f32 v3, v13, 0x3f7ee86f, v22
	v_fmac_f32_e32 v48, 0x3f65296c, v13
	v_add_f32_e32 v18, v21, v18
	v_add_f32_e32 v21, v52, v23
	v_mul_f32_e32 v23, 0x3f4c4adb, v51
	v_fma_f32 v19, 0x3dbcf732, v49, -v19
	v_fmac_f32_e32 v22, 0xbf7ee86f, v13
	v_add_f32_e32 v25, v3, v25
	v_mul_f32_e32 v3, 0xbf1a4643, v16
	v_add_f32_e32 v10, v48, v10
	v_fmamk_f32 v48, v49, 0xbf1a4643, v23
	v_add_f32_e32 v19, v19, v26
	v_add_f32_e32 v22, v22, v27
	v_mul_f32_e32 v26, 0xbeb8f4ab, v51
	v_fmamk_f32 v27, v13, 0xbf4c4adb, v3
	v_add_f32_e32 v28, v48, v28
	v_fma_f32 v23, 0xbf1a4643, v49, -v23
	v_fmac_f32_e32 v3, 0x3f4c4adb, v13
	v_fmamk_f32 v48, v49, 0x3f6eb680, v26
	v_add_f32_e32 v27, v27, v29
	v_mul_f32_e32 v29, 0x3f6eb680, v16
	v_add_f32_e32 v15, v23, v15
	v_add_f32_e32 v23, v3, v35
	;; [unrolled: 1-line block ×3, first 2 shown]
	v_mul_f32_e32 v3, 0xbe3c28d5, v51
	v_fmamk_f32 v34, v13, 0x3eb8f4ab, v29
	v_fma_f32 v26, 0x3f6eb680, v49, -v26
	v_mul_f32_e32 v35, 0xbf7ba420, v16
	v_fmac_f32_e32 v29, 0xbeb8f4ab, v13
	v_fmamk_f32 v52, v49, 0xbf7ba420, v3
	v_add_f32_e32 v39, v34, v39
	v_add_f32_e32 v26, v26, v30
	v_fmamk_f32 v30, v13, 0x3e3c28d5, v35
	v_mul_f32_e32 v34, 0x3f2c7751, v51
	v_fma_f32 v3, 0xbf7ba420, v49, -v3
	v_add_f32_e32 v47, v47, v54
	v_add_f32_e32 v29, v29, v31
	;; [unrolled: 1-line block ×3, first 2 shown]
	v_fmamk_f32 v45, v49, 0x3f3d2fb0, v34
	v_add_f32_e32 v40, v3, v40
	v_mul_f32_e32 v3, 0xbf763a35, v51
	v_add_f32_e32 v31, v52, v42
	v_fmac_f32_e32 v35, 0xbe3c28d5, v13
	v_mul_f32_e32 v42, 0x3f3d2fb0, v16
	v_add_f32_e32 v44, v45, v44
	v_fmamk_f32 v45, v49, 0xbe8c1d8e, v3
	v_fma_f32 v34, 0x3f3d2fb0, v49, -v34
	v_add_f32_e32 v43, v35, v43
	v_fmamk_f32 v35, v13, 0xbf2c7751, v42
	v_fmac_f32_e32 v42, 0x3f2c7751, v13
	v_add_f32_e32 v45, v45, v47
	v_sub_f32_e32 v47, v6, v7
	v_fma_f32 v3, 0xbe8c1d8e, v49, -v3
	v_add_f32_e32 v49, v6, v7
	v_mul_f32_e32 v16, 0xbe8c1d8e, v16
	v_add_f32_e32 v42, v42, v50
	v_add_f32_e32 v50, v4, v5
	v_mul_f32_e32 v6, 0xbe3c28d5, v47
	v_sub_f32_e32 v51, v4, v5
	v_mul_f32_e32 v4, 0xbf7ba420, v49
	v_add_f32_e32 v41, v34, v41
	v_fmamk_f32 v34, v13, 0x3f763a35, v16
	v_fmac_f32_e32 v16, 0xbf763a35, v13
	v_fmamk_f32 v5, v50, 0xbf7ba420, v6
	v_add_f32_e32 v53, v3, v14
	v_fmamk_f32 v3, v51, 0x3e3c28d5, v4
	v_mul_f32_e32 v7, 0x3eb8f4ab, v47
	v_add_f32_e32 v54, v16, v2
	v_add_f32_e32 v2, v5, v9
	v_fma_f32 v5, 0xbf7ba420, v50, -v6
	v_fmac_f32_e32 v4, 0xbe3c28d5, v51
	v_add_f32_e32 v3, v3, v8
	v_fmamk_f32 v6, v50, 0x3f6eb680, v7
	v_mul_f32_e32 v8, 0x3f6eb680, v49
	v_mul_f32_e32 v9, 0xbf06c442, v47
	v_add_f32_e32 v46, v35, v46
	v_add_f32_e32 v52, v34, v24
	;; [unrolled: 1-line block ×5, first 2 shown]
	v_fmamk_f32 v5, v51, 0xbeb8f4ab, v8
	v_fmac_f32_e32 v8, 0x3eb8f4ab, v51
	v_fmamk_f32 v11, v50, 0xbf59a7d5, v9
	v_mul_f32_e32 v13, 0xbf59a7d5, v49
	v_fma_f32 v6, 0x3f6eb680, v50, -v7
	v_mul_f32_e32 v14, 0x3f2c7751, v47
	v_add_f32_e32 v7, v8, v10
	v_add_f32_e32 v8, v11, v21
	v_fmamk_f32 v10, v51, 0x3f06c442, v13
	v_fma_f32 v11, 0xbf59a7d5, v50, -v9
	v_fmac_f32_e32 v13, 0xbf06c442, v51
	v_mul_f32_e32 v16, 0x3f3d2fb0, v49
	v_mul_f32_e32 v17, 0xbf4c4adb, v47
	v_add_f32_e32 v5, v5, v18
	v_add_f32_e32 v6, v6, v12
	;; [unrolled: 1-line block ×3, first 2 shown]
	v_fmamk_f32 v12, v50, 0x3f3d2fb0, v14
	v_add_f32_e32 v10, v11, v19
	v_add_f32_e32 v11, v13, v22
	v_fmamk_f32 v13, v51, 0xbf2c7751, v16
	v_fma_f32 v14, 0x3f3d2fb0, v50, -v14
	v_fmac_f32_e32 v16, 0x3f2c7751, v51
	v_fmamk_f32 v18, v50, 0xbf1a4643, v17
	v_mul_f32_e32 v19, 0xbf1a4643, v49
	v_mul_f32_e32 v21, 0x3f65296c, v47
	v_add_f32_e32 v14, v14, v15
	v_add_f32_e32 v15, v16, v23
	;; [unrolled: 1-line block ×3, first 2 shown]
	v_fmamk_f32 v18, v51, 0x3f4c4adb, v19
	v_fma_f32 v20, 0xbf1a4643, v50, -v17
	v_fmamk_f32 v22, v50, 0x3ee437d1, v21
	v_mul_f32_e32 v23, 0x3ee437d1, v49
	v_fmac_f32_e32 v19, 0xbf4c4adb, v51
	v_mul_f32_e32 v24, 0xbf763a35, v47
	v_add_f32_e32 v13, v13, v27
	v_add_f32_e32 v17, v18, v39
	;; [unrolled: 1-line block ×4, first 2 shown]
	v_fmamk_f32 v22, v51, 0xbf65296c, v23
	v_fma_f32 v25, 0x3ee437d1, v50, -v21
	v_mul_f32_e32 v27, 0xbe8c1d8e, v49
	v_add_f32_e32 v12, v12, v28
	v_add_f32_e32 v19, v19, v29
	v_fmamk_f32 v26, v50, 0xbe8c1d8e, v24
	v_fma_f32 v28, 0xbe8c1d8e, v50, -v24
	v_mul_f32_e32 v29, 0x3f7ee86f, v47
	v_mul_f32_e32 v31, 0x3dbcf732, v49
	v_add_f32_e32 v21, v22, v30
	v_add_f32_e32 v22, v25, v40
	v_fmamk_f32 v25, v51, 0x3f763a35, v27
	v_add_f32_e32 v24, v26, v44
	v_add_f32_e32 v26, v28, v41
	v_fmamk_f32 v28, v50, 0x3dbcf732, v29
	v_fmamk_f32 v30, v51, 0xbf7ee86f, v31
	v_fma_f32 v39, 0x3dbcf732, v50, -v29
	v_fmac_f32_e32 v31, 0x3f7ee86f, v51
	v_fmac_f32_e32 v23, 0x3f65296c, v51
	;; [unrolled: 1-line block ×3, first 2 shown]
	v_add_f32_e32 v25, v25, v46
	v_add_f32_e32 v28, v28, v45
	;; [unrolled: 1-line block ×5, first 2 shown]
	v_add_nc_u32_e32 v39, 0x800, v155
	v_add_f32_e32 v23, v23, v43
	v_add_f32_e32 v27, v27, v42
	ds_write2_b64 v155, v[0:1], v[2:3] offset1:34
	ds_write2_b64 v155, v[4:5], v[8:9] offset0:68 offset1:102
	ds_write2_b64 v155, v[12:13], v[16:17] offset0:136 offset1:170
	;; [unrolled: 1-line block ×7, first 2 shown]
	ds_write_b64 v155, v[34:35] offset:4352
	v_add_nc_u32_e32 v4, 0x1400, v141
	v_add_nc_u32_e32 v16, 0x1c00, v141
	s_waitcnt lgkmcnt(0)
	s_barrier
	buffer_gl0_inv
	ds_read2_b64 v[12:15], v141 offset1:68
	ds_read2_b64 v[24:27], v38 offset0:66 offset1:134
	ds_read2_b64 v[0:3], v141 offset0:136 offset1:204
	;; [unrolled: 1-line block ×7, first 2 shown]
	v_add_nc_u32_e32 v38, 0xcc0, v141
	v_add_nc_u32_e32 v37, 0xee0, v141
	s_and_saveexec_b32 s0, vcc_lo
	s_cbranch_execz .LBB0_15
; %bb.14:
	ds_read_b64 v[34:35], v141 offset:4352
	ds_read_b64 v[32:33], v141 offset:8976
.LBB0_15:
	s_or_b32 exec_lo, exec_lo, s0
	s_waitcnt lgkmcnt(6)
	v_mul_f32_e32 v39, v134, v25
	v_mul_f32_e32 v40, v134, v24
	;; [unrolled: 1-line block ×4, first 2 shown]
	s_waitcnt lgkmcnt(0)
	v_mul_f32_e32 v43, v124, v17
	v_fmac_f32_e32 v39, v133, v24
	v_fma_f32 v24, v133, v25, -v40
	v_mul_f32_e32 v25, v126, v29
	v_mul_f32_e32 v40, v126, v28
	v_fmac_f32_e32 v41, v129, v26
	v_mul_f32_e32 v26, v122, v31
	v_fma_f32 v27, v129, v27, -v42
	v_fmac_f32_e32 v25, v125, v28
	v_fma_f32 v28, v125, v29, -v40
	v_mul_f32_e32 v29, v122, v30
	v_fmac_f32_e32 v26, v121, v30
	v_mul_f32_e32 v30, v120, v21
	v_mul_f32_e32 v40, v120, v20
	;; [unrolled: 1-line block ×3, first 2 shown]
	v_fma_f32 v29, v121, v31, -v29
	v_mul_f32_e32 v31, v132, v22
	v_fmac_f32_e32 v30, v119, v20
	v_fma_f32 v40, v119, v21, -v40
	v_mul_f32_e32 v20, v124, v16
	v_mul_f32_e32 v44, v128, v19
	;; [unrolled: 1-line block ×3, first 2 shown]
	v_fmac_f32_e32 v42, v131, v22
	v_fma_f32 v31, v131, v23, -v31
	v_fmac_f32_e32 v43, v123, v16
	v_sub_f32_e32 v16, v12, v39
	v_fma_f32 v39, v123, v17, -v20
	v_fmac_f32_e32 v44, v127, v18
	v_fma_f32 v45, v127, v19, -v21
	v_sub_f32_e32 v17, v13, v24
	v_sub_f32_e32 v18, v14, v41
	;; [unrolled: 1-line block ×5, first 2 shown]
	v_fma_f32 v12, v12, 2.0, -v16
	v_fma_f32 v13, v13, 2.0, -v17
	v_sub_f32_e32 v22, v2, v26
	v_sub_f32_e32 v23, v3, v29
	;; [unrolled: 1-line block ×10, first 2 shown]
	v_fma_f32 v14, v14, 2.0, -v18
	v_fma_f32 v15, v15, 2.0, -v19
	;; [unrolled: 1-line block ×14, first 2 shown]
	ds_write_b64 v141, v[12:13]
	ds_write_b64 v156, v[16:17] offset:4624
	ds_write_b64 v141, v[14:15] offset:544
	;; [unrolled: 1-line block ×12, first 2 shown]
	ds_write2_b64 v36, v[4:5], v[6:7] offset0:152 offset1:220
	ds_write_b64 v37, v[30:31] offset:4624
	s_and_saveexec_b32 s0, vcc_lo
	s_cbranch_execz .LBB0_17
; %bb.16:
	v_mul_f32_e32 v0, v118, v32
	v_mul_f32_e32 v2, v118, v33
	v_fma_f32 v0, v117, v33, -v0
	v_fmac_f32_e32 v2, v117, v32
	v_sub_f32_e32 v1, v35, v0
	v_sub_f32_e32 v0, v34, v2
	v_fma_f32 v3, v35, 2.0, -v1
	v_fma_f32 v2, v34, 2.0, -v0
	ds_write_b64 v141, v[2:3] offset:4352
	ds_write_b64 v156, v[0:1] offset:8976
.LBB0_17:
	s_or_b32 exec_lo, exec_lo, s0
	s_waitcnt lgkmcnt(0)
	s_barrier
	buffer_gl0_inv
	ds_read2_b64 v[0:3], v141 offset1:68
	v_add_nc_u32_e32 v27, 0x800, v141
	ds_read2_b64 v[4:7], v141 offset0:136 offset1:204
	ds_read2_b64 v[8:11], v27 offset0:16 offset1:84
	v_mad_u64_u32 v[14:15], null, s8, v142, 0
	v_mad_u64_u32 v[12:13], null, s10, v74, 0
	s_mov_b32 s0, 0xd10d4986
	s_mov_b32 s1, 0x3f4c5894
	v_add_nc_u32_e32 v38, 0x1000, v141
	s_mul_i32 s2, s9, 0x220
	s_mul_hi_u32 s3, s8, 0x220
	v_mad_u64_u32 v[24:25], null, s11, v74, v[13:14]
	s_add_i32 s2, s3, s2
	s_mul_i32 s3, s8, 0x220
	s_waitcnt lgkmcnt(2)
	v_mul_f32_e32 v16, v82, v1
	v_mul_f32_e32 v17, v82, v0
	;; [unrolled: 1-line block ×4, first 2 shown]
	s_waitcnt lgkmcnt(1)
	v_mul_f32_e32 v28, v80, v7
	v_fmac_f32_e32 v16, v81, v0
	v_fma_f32 v1, v81, v1, -v17
	v_fmac_f32_e32 v20, v83, v2
	v_fma_f32 v2, v83, v3, -v18
	v_mov_b32_e32 v0, v15
	v_cvt_f64_f32_e32 v[16:17], v16
	v_cvt_f64_f32_e32 v[18:19], v1
	;; [unrolled: 1-line block ×4, first 2 shown]
	v_mad_u64_u32 v[25:26], null, s9, v142, v[0:1]
	v_mul_f32_e32 v26, v78, v5
	ds_read2_b64 v[0:3], v27 offset0:152 offset1:220
	v_mul_f32_e32 v27, v78, v4
	v_mul_f32_e32 v29, v80, v6
	v_mov_b32_e32 v13, v24
	v_fmac_f32_e32 v26, v77, v4
	v_fmac_f32_e32 v28, v79, v6
	v_fma_f32 v24, v77, v5, -v27
	v_fma_f32 v27, v79, v7, -v29
	v_mov_b32_e32 v15, v25
	v_lshlrev_b64 v[12:13], 3, v[12:13]
	s_waitcnt lgkmcnt(1)
	v_mul_f32_e32 v29, v98, v9
	v_mul_f32_e32 v30, v98, v8
	;; [unrolled: 1-line block ×3, first 2 shown]
	v_lshlrev_b64 v[14:15], 3, v[14:15]
	v_mul_f64 v[4:5], v[16:17], s[0:1]
	v_mul_f64 v[6:7], v[18:19], s[0:1]
	;; [unrolled: 1-line block ×3, first 2 shown]
	v_cvt_f64_f32_e32 v[20:21], v26
	v_mul_f64 v[18:19], v[22:23], s[0:1]
	v_cvt_f64_f32_e32 v[22:23], v24
	v_cvt_f64_f32_e32 v[24:25], v28
	;; [unrolled: 1-line block ×3, first 2 shown]
	v_fmac_f32_e32 v29, v97, v8
	v_add_co_u32 v12, vcc_lo, s4, v12
	v_fma_f32 v28, v97, v9, -v30
	v_add_co_ci_u32_e32 v13, vcc_lo, s5, v13, vcc_lo
	v_fmac_f32_e32 v31, v95, v10
	v_mul_f32_e32 v10, v96, v10
	v_cvt_f64_f32_e32 v[8:9], v29
	v_add_co_u32 v12, vcc_lo, v12, v14
	v_add_co_ci_u32_e32 v13, vcc_lo, v13, v15, vcc_lo
	s_waitcnt lgkmcnt(0)
	v_mul_f32_e32 v29, v94, v1
	v_cvt_f32_f64_e32 v14, v[4:5]
	v_cvt_f32_f64_e32 v15, v[6:7]
	v_cvt_f64_f32_e32 v[6:7], v28
	v_mul_f64 v[4:5], v[20:21], s[0:1]
	v_fma_f32 v28, v95, v11, -v10
	v_cvt_f32_f64_e32 v16, v[16:17]
	v_cvt_f32_f64_e32 v17, v[18:19]
	v_mul_f64 v[18:19], v[22:23], s[0:1]
	v_cvt_f64_f32_e32 v[20:21], v31
	v_mul_f64 v[10:11], v[24:25], s[0:1]
	v_cvt_f64_f32_e32 v[24:25], v28
	v_mul_f64 v[22:23], v[26:27], s[0:1]
	v_mul_f32_e32 v30, v94, v0
	v_fmac_f32_e32 v29, v93, v0
	v_add_co_u32 v28, vcc_lo, v12, s3
	v_mul_f32_e32 v36, v90, v3
	v_fma_f32 v26, v93, v1, -v30
	v_mul_f64 v[0:1], v[8:9], s[0:1]
	v_cvt_f64_f32_e32 v[8:9], v29
	v_add_co_ci_u32_e32 v29, vcc_lo, s2, v13, vcc_lo
	v_cvt_f64_f32_e32 v[26:27], v26
	v_fmac_f32_e32 v36, v89, v2
	v_mul_f64 v[32:33], v[6:7], s[0:1]
	v_cvt_f32_f64_e32 v30, v[4:5]
	ds_read2_b64 v[4:7], v38 offset0:32 offset1:100
	v_cvt_f32_f64_e32 v31, v[18:19]
	v_mul_f64 v[18:19], v[20:21], s[0:1]
	v_cvt_f32_f64_e32 v10, v[10:11]
	v_mul_f64 v[24:25], v[24:25], s[0:1]
	v_cvt_f32_f64_e32 v11, v[22:23]
	v_add_co_u32 v20, vcc_lo, v28, s3
	v_add_co_ci_u32_e32 v21, vcc_lo, s2, v29, vcc_lo
	v_add_co_u32 v22, vcc_lo, v20, s3
	v_cvt_f32_f64_e32 v34, v[0:1]
	v_mul_f32_e32 v0, v90, v2
	v_mul_f64 v[8:9], v[8:9], s[0:1]
	v_mul_f64 v[26:27], v[26:27], s[0:1]
	v_add_co_ci_u32_e32 v23, vcc_lo, s2, v21, vcc_lo
	s_waitcnt lgkmcnt(0)
	v_mul_f32_e32 v1, v92, v5
	v_mul_f32_e32 v2, v92, v4
	v_fma_f32 v0, v89, v3, -v0
	v_cvt_f32_f64_e32 v35, v[32:33]
	global_store_dwordx2 v[12:13], v[14:15], off
	global_store_dwordx2 v[28:29], v[16:17], off
	global_store_dwordx2 v[20:21], v[30:31], off
	global_store_dwordx2 v[22:23], v[10:11], off
	v_fmac_f32_e32 v1, v91, v4
	v_fma_f32 v2, v91, v5, -v2
	v_cvt_f32_f64_e32 v4, v[18:19]
	v_cvt_f32_f64_e32 v5, v[24:25]
	v_cvt_f64_f32_e32 v[32:33], v36
	v_cvt_f64_f32_e32 v[18:19], v0
	;; [unrolled: 1-line block ×4, first 2 shown]
	ds_read2_b64 v[0:3], v38 offset0:168 offset1:236
	v_add_co_u32 v10, vcc_lo, v22, s3
	v_add_co_ci_u32_e32 v11, vcc_lo, s2, v23, vcc_lo
	v_mul_f32_e32 v20, v88, v7
	v_add_co_u32 v12, vcc_lo, v10, s3
	v_add_co_ci_u32_e32 v13, vcc_lo, s2, v11, vcc_lo
	v_cvt_f32_f64_e32 v8, v[8:9]
	v_cvt_f32_f64_e32 v9, v[26:27]
	global_store_dwordx2 v[10:11], v[34:35], off
	v_fmac_f32_e32 v20, v87, v6
	global_store_dwordx2 v[12:13], v[4:5], off
	v_mul_f32_e32 v4, v88, v6
	v_mul_f64 v[10:11], v[32:33], s[0:1]
	s_waitcnt lgkmcnt(0)
	v_mul_f32_e32 v6, v86, v0
	v_mul_f64 v[14:15], v[18:19], s[0:1]
	v_mul_f64 v[16:17], v[24:25], s[0:1]
	;; [unrolled: 1-line block ×3, first 2 shown]
	v_cvt_f64_f32_e32 v[20:21], v20
	v_fma_f32 v6, v85, v1, -v6
	v_add_co_u32 v12, vcc_lo, v12, s3
	v_mul_f32_e32 v5, v86, v1
	v_add_co_ci_u32_e32 v13, vcc_lo, s2, v13, vcc_lo
	v_cvt_f64_f32_e32 v[24:25], v6
	v_fma_f32 v4, v87, v7, -v4
	v_fmac_f32_e32 v5, v85, v0
	global_store_dwordx2 v[12:13], v[8:9], off
	v_add_nc_u32_e32 v8, 0x1800, v141
	v_mul_f32_e32 v28, v76, v3
	v_cvt_f64_f32_e32 v[0:1], v4
	v_cvt_f64_f32_e32 v[22:23], v5
	v_mul_f32_e32 v29, v76, v2
	ds_read2_b64 v[4:7], v8 offset0:48 offset1:116
	v_cvt_f32_f64_e32 v26, v[10:11]
	ds_read2_b64 v[8:11], v8 offset0:184 offset1:252
	v_cvt_f32_f64_e32 v27, v[14:15]
	v_fmac_f32_e32 v28, v75, v2
	v_cvt_f32_f64_e32 v15, v[18:19]
	v_mul_f64 v[18:19], v[20:21], s[0:1]
	v_fma_f32 v29, v75, v3, -v29
	v_cvt_f32_f64_e32 v14, v[16:17]
	v_add_co_u32 v12, vcc_lo, v12, s3
	v_add_co_ci_u32_e32 v13, vcc_lo, s2, v13, vcc_lo
	v_mul_f64 v[20:21], v[24:25], s[0:1]
	ds_read_b64 v[24:25], v141 offset:8704
	v_add_co_u32 v16, vcc_lo, v12, s3
	v_add_co_ci_u32_e32 v17, vcc_lo, s2, v13, vcc_lo
	v_mul_f64 v[0:1], v[0:1], s[0:1]
	s_waitcnt lgkmcnt(2)
	v_mul_f32_e32 v30, v69, v5
	v_mul_f32_e32 v31, v69, v4
	s_waitcnt lgkmcnt(1)
	v_mul_f32_e32 v34, v65, v9
	v_mul_f32_e32 v32, v67, v7
	;; [unrolled: 1-line block ×5, first 2 shown]
	v_fmac_f32_e32 v34, v64, v8
	v_mul_f32_e32 v8, v65, v8
	v_mul_f64 v[2:3], v[22:23], s[0:1]
	v_cvt_f64_f32_e32 v[22:23], v28
	v_cvt_f64_f32_e32 v[28:29], v29
	v_fmac_f32_e32 v30, v68, v4
	v_fma_f32 v31, v68, v5, -v31
	s_waitcnt lgkmcnt(0)
	v_mul_f32_e32 v38, v73, v25
	v_mul_f32_e32 v39, v73, v24
	v_fmac_f32_e32 v32, v66, v6
	v_fma_f32 v33, v66, v7, -v33
	v_fma_f32 v8, v64, v9, -v8
	v_fmac_f32_e32 v36, v70, v10
	v_fma_f32 v37, v70, v11, -v37
	v_cvt_f64_f32_e32 v[4:5], v30
	v_cvt_f64_f32_e32 v[6:7], v31
	v_fmac_f32_e32 v38, v72, v24
	v_fma_f32 v39, v72, v25, -v39
	v_cvt_f64_f32_e32 v[30:31], v32
	v_cvt_f64_f32_e32 v[32:33], v33
	;; [unrolled: 1-line block ×8, first 2 shown]
	global_store_dwordx2 v[12:13], v[26:27], off
	global_store_dwordx2 v[16:17], v[14:15], off
	v_cvt_f32_f64_e32 v13, v[0:1]
	v_mul_f64 v[0:1], v[22:23], s[0:1]
	v_mul_f64 v[14:15], v[28:29], s[0:1]
	v_cvt_f32_f64_e32 v12, v[18:19]
	v_cvt_f32_f64_e32 v2, v[2:3]
	;; [unrolled: 1-line block ×3, first 2 shown]
	v_add_co_u32 v16, vcc_lo, v16, s3
	v_add_co_ci_u32_e32 v17, vcc_lo, s2, v17, vcc_lo
	v_mul_f64 v[4:5], v[4:5], s[0:1]
	v_mul_f64 v[6:7], v[6:7], s[0:1]
	;; [unrolled: 1-line block ×10, first 2 shown]
	v_add_co_u32 v30, vcc_lo, v16, s3
	v_add_co_ci_u32_e32 v31, vcc_lo, s2, v17, vcc_lo
	v_cvt_f32_f64_e32 v0, v[0:1]
	v_cvt_f32_f64_e32 v1, v[14:15]
	v_add_co_u32 v14, vcc_lo, v30, s3
	v_add_co_ci_u32_e32 v15, vcc_lo, s2, v31, vcc_lo
	global_store_dwordx2 v[16:17], v[12:13], off
	v_cvt_f32_f64_e32 v4, v[4:5]
	v_cvt_f32_f64_e32 v5, v[6:7]
	v_add_co_u32 v6, vcc_lo, v14, s3
	v_add_co_ci_u32_e32 v7, vcc_lo, s2, v15, vcc_lo
	v_cvt_f32_f64_e32 v18, v[18:19]
	v_cvt_f32_f64_e32 v19, v[20:21]
	;; [unrolled: 1-line block ×8, first 2 shown]
	v_add_co_u32 v22, vcc_lo, v6, s3
	v_add_co_ci_u32_e32 v23, vcc_lo, s2, v7, vcc_lo
	global_store_dwordx2 v[30:31], v[2:3], off
	v_add_co_u32 v12, vcc_lo, v22, s3
	v_add_co_ci_u32_e32 v13, vcc_lo, s2, v23, vcc_lo
	global_store_dwordx2 v[14:15], v[0:1], off
	v_add_co_u32 v2, vcc_lo, v12, s3
	v_add_co_ci_u32_e32 v3, vcc_lo, s2, v13, vcc_lo
	v_add_co_u32 v0, vcc_lo, v2, s3
	v_add_co_ci_u32_e32 v1, vcc_lo, s2, v3, vcc_lo
	global_store_dwordx2 v[6:7], v[4:5], off
	global_store_dwordx2 v[22:23], v[18:19], off
	;; [unrolled: 1-line block ×5, first 2 shown]
.LBB0_18:
	s_endpgm
	.section	.rodata,"a",@progbits
	.p2align	6, 0x0
	.amdhsa_kernel bluestein_single_fwd_len1156_dim1_sp_op_CI_CI
		.amdhsa_group_segment_fixed_size 27744
		.amdhsa_private_segment_fixed_size 0
		.amdhsa_kernarg_size 104
		.amdhsa_user_sgpr_count 6
		.amdhsa_user_sgpr_private_segment_buffer 1
		.amdhsa_user_sgpr_dispatch_ptr 0
		.amdhsa_user_sgpr_queue_ptr 0
		.amdhsa_user_sgpr_kernarg_segment_ptr 1
		.amdhsa_user_sgpr_dispatch_id 0
		.amdhsa_user_sgpr_flat_scratch_init 0
		.amdhsa_user_sgpr_private_segment_size 0
		.amdhsa_wavefront_size32 1
		.amdhsa_uses_dynamic_stack 0
		.amdhsa_system_sgpr_private_segment_wavefront_offset 0
		.amdhsa_system_sgpr_workgroup_id_x 1
		.amdhsa_system_sgpr_workgroup_id_y 0
		.amdhsa_system_sgpr_workgroup_id_z 0
		.amdhsa_system_sgpr_workgroup_info 0
		.amdhsa_system_vgpr_workitem_id 0
		.amdhsa_next_free_vgpr 253
		.amdhsa_next_free_sgpr 20
		.amdhsa_reserve_vcc 1
		.amdhsa_reserve_flat_scratch 0
		.amdhsa_float_round_mode_32 0
		.amdhsa_float_round_mode_16_64 0
		.amdhsa_float_denorm_mode_32 3
		.amdhsa_float_denorm_mode_16_64 3
		.amdhsa_dx10_clamp 1
		.amdhsa_ieee_mode 1
		.amdhsa_fp16_overflow 0
		.amdhsa_workgroup_processor_mode 1
		.amdhsa_memory_ordered 1
		.amdhsa_forward_progress 0
		.amdhsa_shared_vgpr_count 0
		.amdhsa_exception_fp_ieee_invalid_op 0
		.amdhsa_exception_fp_denorm_src 0
		.amdhsa_exception_fp_ieee_div_zero 0
		.amdhsa_exception_fp_ieee_overflow 0
		.amdhsa_exception_fp_ieee_underflow 0
		.amdhsa_exception_fp_ieee_inexact 0
		.amdhsa_exception_int_div_zero 0
	.end_amdhsa_kernel
	.text
.Lfunc_end0:
	.size	bluestein_single_fwd_len1156_dim1_sp_op_CI_CI, .Lfunc_end0-bluestein_single_fwd_len1156_dim1_sp_op_CI_CI
                                        ; -- End function
	.section	.AMDGPU.csdata,"",@progbits
; Kernel info:
; codeLenInByte = 27876
; NumSgprs: 22
; NumVgprs: 253
; ScratchSize: 0
; MemoryBound: 0
; FloatMode: 240
; IeeeMode: 1
; LDSByteSize: 27744 bytes/workgroup (compile time only)
; SGPRBlocks: 2
; VGPRBlocks: 31
; NumSGPRsForWavesPerEU: 22
; NumVGPRsForWavesPerEU: 253
; Occupancy: 4
; WaveLimiterHint : 1
; COMPUTE_PGM_RSRC2:SCRATCH_EN: 0
; COMPUTE_PGM_RSRC2:USER_SGPR: 6
; COMPUTE_PGM_RSRC2:TRAP_HANDLER: 0
; COMPUTE_PGM_RSRC2:TGID_X_EN: 1
; COMPUTE_PGM_RSRC2:TGID_Y_EN: 0
; COMPUTE_PGM_RSRC2:TGID_Z_EN: 0
; COMPUTE_PGM_RSRC2:TIDIG_COMP_CNT: 0
	.text
	.p2alignl 6, 3214868480
	.fill 48, 4, 3214868480
	.type	__hip_cuid_e996919cdba337d3,@object ; @__hip_cuid_e996919cdba337d3
	.section	.bss,"aw",@nobits
	.globl	__hip_cuid_e996919cdba337d3
__hip_cuid_e996919cdba337d3:
	.byte	0                               ; 0x0
	.size	__hip_cuid_e996919cdba337d3, 1

	.ident	"AMD clang version 19.0.0git (https://github.com/RadeonOpenCompute/llvm-project roc-6.4.0 25133 c7fe45cf4b819c5991fe208aaa96edf142730f1d)"
	.section	".note.GNU-stack","",@progbits
	.addrsig
	.addrsig_sym __hip_cuid_e996919cdba337d3
	.amdgpu_metadata
---
amdhsa.kernels:
  - .args:
      - .actual_access:  read_only
        .address_space:  global
        .offset:         0
        .size:           8
        .value_kind:     global_buffer
      - .actual_access:  read_only
        .address_space:  global
        .offset:         8
        .size:           8
        .value_kind:     global_buffer
      - .actual_access:  read_only
        .address_space:  global
        .offset:         16
        .size:           8
        .value_kind:     global_buffer
      - .actual_access:  read_only
        .address_space:  global
        .offset:         24
        .size:           8
        .value_kind:     global_buffer
      - .actual_access:  read_only
        .address_space:  global
        .offset:         32
        .size:           8
        .value_kind:     global_buffer
      - .offset:         40
        .size:           8
        .value_kind:     by_value
      - .address_space:  global
        .offset:         48
        .size:           8
        .value_kind:     global_buffer
      - .address_space:  global
        .offset:         56
        .size:           8
        .value_kind:     global_buffer
      - .address_space:  global
        .offset:         64
        .size:           8
        .value_kind:     global_buffer
      - .address_space:  global
        .offset:         72
        .size:           8
        .value_kind:     global_buffer
      - .offset:         80
        .size:           4
        .value_kind:     by_value
      - .address_space:  global
        .offset:         88
        .size:           8
        .value_kind:     global_buffer
      - .address_space:  global
        .offset:         96
        .size:           8
        .value_kind:     global_buffer
    .group_segment_fixed_size: 27744
    .kernarg_segment_align: 8
    .kernarg_segment_size: 104
    .language:       OpenCL C
    .language_version:
      - 2
      - 0
    .max_flat_workgroup_size: 204
    .name:           bluestein_single_fwd_len1156_dim1_sp_op_CI_CI
    .private_segment_fixed_size: 0
    .sgpr_count:     22
    .sgpr_spill_count: 0
    .symbol:         bluestein_single_fwd_len1156_dim1_sp_op_CI_CI.kd
    .uniform_work_group_size: 1
    .uses_dynamic_stack: false
    .vgpr_count:     253
    .vgpr_spill_count: 0
    .wavefront_size: 32
    .workgroup_processor_mode: 1
amdhsa.target:   amdgcn-amd-amdhsa--gfx1030
amdhsa.version:
  - 1
  - 2
...

	.end_amdgpu_metadata
